;; amdgpu-corpus repo=ROCm/rocFFT kind=compiled arch=gfx1030 opt=O3
	.text
	.amdgcn_target "amdgcn-amd-amdhsa--gfx1030"
	.amdhsa_code_object_version 6
	.protected	bluestein_single_fwd_len825_dim1_dp_op_CI_CI ; -- Begin function bluestein_single_fwd_len825_dim1_dp_op_CI_CI
	.globl	bluestein_single_fwd_len825_dim1_dp_op_CI_CI
	.p2align	8
	.type	bluestein_single_fwd_len825_dim1_dp_op_CI_CI,@function
bluestein_single_fwd_len825_dim1_dp_op_CI_CI: ; @bluestein_single_fwd_len825_dim1_dp_op_CI_CI
; %bb.0:
	s_load_dwordx4 s[12:15], s[4:5], 0x28
	v_mul_u32_u24_e32 v1, 0x4a8, v0
	s_mov_b64 s[42:43], s[2:3]
	s_mov_b64 s[40:41], s[0:1]
	v_mov_b32_e32 v8, 0
	s_add_u32 s40, s40, s7
	v_lshrrev_b32_e32 v1, 16, v1
	s_addc_u32 s41, s41, 0
	s_mov_b32 s0, exec_lo
	v_add_nc_u32_e32 v7, s6, v1
	s_waitcnt lgkmcnt(0)
	v_cmpx_gt_u64_e64 s[12:13], v[7:8]
	s_cbranch_execz .LBB0_15
; %bb.1:
	s_clause 0x1
	s_load_dwordx4 s[8:11], s[4:5], 0x18
	s_load_dwordx2 s[6:7], s[4:5], 0x0
	v_mul_lo_u16 v1, v1, 55
	v_mov_b32_e32 v8, v7
	v_sub_nc_u16 v31, v0, v1
	v_and_b32_e32 v32, 0xffff, v31
	v_lshlrev_b32_e32 v6, 4, v32
	s_waitcnt lgkmcnt(0)
	s_load_dwordx4 s[0:3], s[8:9], 0x0
	s_clause 0x1
	global_load_dwordx4 v[110:113], v6, s[6:7]
	global_load_dwordx4 v[33:36], v6, s[6:7] offset:1200
	v_add_co_u32 v0, s8, s6, v6
	v_add_co_ci_u32_e64 v1, null, s7, 0, s8
	buffer_store_dword v8, off, s[40:43], 0 offset:56 ; 4-byte Folded Spill
	buffer_store_dword v9, off, s[40:43], 0 offset:60 ; 4-byte Folded Spill
	v_add_co_u32 v19, vcc_lo, 0x800, v0
	v_add_co_ci_u32_e32 v20, vcc_lo, 0, v1, vcc_lo
	v_add_co_u32 v10, vcc_lo, 0x1000, v0
	v_add_co_ci_u32_e32 v11, vcc_lo, 0, v1, vcc_lo
	global_load_dwordx4 v[138:141], v[19:20], off offset:352
	buffer_store_dword v19, off, s[40:43], 0 offset:48 ; 4-byte Folded Spill
	buffer_store_dword v20, off, s[40:43], 0 offset:52 ; 4-byte Folded Spill
	v_add_co_u32 v13, vcc_lo, 0x1800, v0
	v_add_co_ci_u32_e32 v14, vcc_lo, 0, v1, vcc_lo
	s_waitcnt lgkmcnt(0)
	v_mad_u64_u32 v[2:3], null, s2, v7, 0
	v_mad_u64_u32 v[4:5], null, s0, v32, 0
	v_add_co_u32 v17, vcc_lo, 0x2000, v0
	v_add_co_ci_u32_e32 v18, vcc_lo, 0, v1, vcc_lo
	v_add_co_u32 v15, vcc_lo, 0x2800, v0
	v_mad_u64_u32 v[7:8], null, s3, v7, v[3:4]
	v_mov_b32_e32 v3, v5
	v_add_co_ci_u32_e32 v16, vcc_lo, 0, v1, vcc_lo
	s_mul_i32 s3, s1, 0x4b
	s_mul_hi_u32 s6, s0, 0x4b
	v_mad_u64_u32 v[8:9], null, s1, v32, v[3:4]
	v_mov_b32_e32 v3, v7
	s_mul_i32 s2, s0, 0x4b
	s_add_i32 s3, s6, s3
	global_load_dwordx4 v[130:133], v[10:11], off offset:704
	s_lshl_b64 s[6:7], s[2:3], 4
	v_lshlrev_b64 v[2:3], 4, v[2:3]
	v_mov_b32_e32 v5, v8
	v_lshlrev_b64 v[4:5], 4, v[4:5]
	v_add_co_u32 v2, vcc_lo, s14, v2
	v_add_co_ci_u32_e32 v3, vcc_lo, s15, v3, vcc_lo
	v_add_co_u32 v2, vcc_lo, v2, v4
	v_add_co_ci_u32_e32 v3, vcc_lo, v3, v5, vcc_lo
	;; [unrolled: 2-line block ×3, first 2 shown]
	global_load_dwordx4 v[134:137], v[19:20], off offset:1552
	buffer_store_dword v10, off, s[40:43], 0 offset:40 ; 4-byte Folded Spill
	buffer_store_dword v11, off, s[40:43], 0 offset:44 ; 4-byte Folded Spill
	global_load_dwordx4 v[114:117], v[10:11], off offset:1904
	buffer_store_dword v13, off, s[40:43], 0 offset:32 ; 4-byte Folded Spill
	buffer_store_dword v14, off, s[40:43], 0 offset:36 ; 4-byte Folded Spill
	v_add_co_u32 v11, vcc_lo, v4, s6
	v_add_co_ci_u32_e32 v12, vcc_lo, s7, v5, vcc_lo
	s_clause 0x1
	global_load_dwordx4 v[106:109], v[13:14], off offset:1056
	global_load_dwordx4 v[37:40], v[17:18], off offset:208
	v_add_co_u32 v13, vcc_lo, v11, s6
	v_add_co_ci_u32_e32 v14, vcc_lo, s7, v12, vcc_lo
	s_clause 0x1
	global_load_dwordx4 v[7:10], v[2:3], off
	global_load_dwordx4 v[44:47], v[4:5], off
	v_add_co_u32 v2, vcc_lo, v13, s6
	v_add_co_ci_u32_e32 v3, vcc_lo, s7, v14, vcc_lo
	s_clause 0x1
	global_load_dwordx4 v[48:51], v[11:12], off
	global_load_dwordx4 v[52:55], v[13:14], off
	v_add_co_u32 v4, vcc_lo, v2, s6
	v_add_co_ci_u32_e32 v5, vcc_lo, s7, v3, vcc_lo
	global_load_dwordx4 v[56:59], v[2:3], off
	v_add_co_u32 v2, vcc_lo, v4, s6
	v_add_co_ci_u32_e32 v3, vcc_lo, s7, v5, vcc_lo
	;; [unrolled: 3-line block ×4, first 2 shown]
	global_load_dwordx4 v[68:71], v[4:5], off
	v_add_co_u32 v4, vcc_lo, v2, s6
	global_load_dwordx4 v[72:75], v[2:3], off
	buffer_store_dword v17, off, s[40:43], 0 offset:24 ; 4-byte Folded Spill
	buffer_store_dword v18, off, s[40:43], 0 offset:28 ; 4-byte Folded Spill
	v_add_co_ci_u32_e32 v5, vcc_lo, s7, v3, vcc_lo
	v_add_co_u32 v2, vcc_lo, v4, s6
	s_clause 0x1
	global_load_dwordx4 v[122:125], v[17:18], off offset:1408
	global_load_dwordx4 v[118:121], v[15:16], off offset:560
	global_load_dwordx4 v[76:79], v[4:5], off
	buffer_store_dword v15, off, s[40:43], 0 offset:16 ; 4-byte Folded Spill
	buffer_store_dword v16, off, s[40:43], 0 offset:20 ; 4-byte Folded Spill
	v_add_co_ci_u32_e32 v3, vcc_lo, s7, v5, vcc_lo
	s_waitcnt vmcnt(11)
	v_mul_f64 v[4:5], v[9:10], v[112:113]
	s_waitcnt vmcnt(10)
	v_mul_f64 v[13:14], v[46:47], v[35:36]
	;; [unrolled: 2-line block ×8, first 2 shown]
	v_mul_f64 v[11:12], v[7:8], v[112:113]
	v_mul_f64 v[19:20], v[48:49], v[140:141]
	;; [unrolled: 1-line block ×7, first 2 shown]
	v_cmp_gt_u16_e32 vcc_lo, 20, v31
	global_load_dwordx4 v[126:129], v[15:16], off offset:1760
	global_load_dwordx4 v[80:83], v[2:3], off
	s_waitcnt vmcnt(4)
	v_mul_f64 v[94:95], v[74:75], v[124:125]
	s_waitcnt vmcnt(2)
	v_mul_f64 v[98:99], v[78:79], v[120:121]
	v_mul_f64 v[15:16], v[44:45], v[35:36]
	v_fma_f64 v[7:8], v[7:8], v[110:111], v[4:5]
	buffer_store_dword v110, off, s[40:43], 0 offset:116 ; 4-byte Folded Spill
	buffer_store_dword v111, off, s[40:43], 0 offset:120 ; 4-byte Folded Spill
	buffer_store_dword v112, off, s[40:43], 0 offset:124 ; 4-byte Folded Spill
	buffer_store_dword v113, off, s[40:43], 0 offset:128 ; 4-byte Folded Spill
	v_fma_f64 v[44:45], v[44:45], v[33:34], v[13:14]
	buffer_store_dword v33, off, s[40:43], 0 offset:68 ; 4-byte Folded Spill
	buffer_store_dword v34, off, s[40:43], 0 offset:72 ; 4-byte Folded Spill
	buffer_store_dword v35, off, s[40:43], 0 offset:76 ; 4-byte Folded Spill
	buffer_store_dword v36, off, s[40:43], 0 offset:80 ; 4-byte Folded Spill
	;; [unrolled: 5-line block ×8, first 2 shown]
	v_mul_f64 v[96:97], v[72:73], v[124:125]
	v_mul_f64 v[100:101], v[76:77], v[120:121]
	v_fma_f64 v[72:73], v[72:73], v[122:123], v[94:95]
	buffer_store_dword v122, off, s[40:43], 0 offset:164 ; 4-byte Folded Spill
	buffer_store_dword v123, off, s[40:43], 0 offset:168 ; 4-byte Folded Spill
	buffer_store_dword v124, off, s[40:43], 0 offset:172 ; 4-byte Folded Spill
	buffer_store_dword v125, off, s[40:43], 0 offset:176 ; 4-byte Folded Spill
	v_fma_f64 v[76:77], v[76:77], v[118:119], v[98:99]
	buffer_store_dword v118, off, s[40:43], 0 offset:148 ; 4-byte Folded Spill
	buffer_store_dword v119, off, s[40:43], 0 offset:152 ; 4-byte Folded Spill
	;; [unrolled: 1-line block ×4, first 2 shown]
	s_waitcnt vmcnt(0)
	v_mul_f64 v[102:103], v[82:83], v[128:129]
	v_mul_f64 v[104:105], v[80:81], v[128:129]
	v_fma_f64 v[9:10], v[9:10], v[110:111], -v[11:12]
	v_fma_f64 v[46:47], v[46:47], v[33:34], -v[15:16]
	;; [unrolled: 1-line block ×9, first 2 shown]
	v_fma_f64 v[80:81], v[80:81], v[126:127], v[102:103]
	buffer_store_dword v126, off, s[40:43], 0 offset:180 ; 4-byte Folded Spill
	buffer_store_dword v127, off, s[40:43], 0 offset:184 ; 4-byte Folded Spill
	;; [unrolled: 1-line block ×4, first 2 shown]
	v_fma_f64 v[78:79], v[78:79], v[118:119], -v[100:101]
	s_load_dwordx2 s[2:3], s[4:5], 0x38
	s_load_dwordx4 s[8:11], s[10:11], 0x0
	ds_write_b128 v6, v[7:10]
	ds_write_b128 v6, v[44:47] offset:1200
	ds_write_b128 v6, v[48:51] offset:2400
	;; [unrolled: 1-line block ×6, first 2 shown]
	v_fma_f64 v[82:83], v[82:83], v[126:127], -v[104:105]
	ds_write_b128 v6, v[68:71] offset:8400
	ds_write_b128 v6, v[72:75] offset:9600
	;; [unrolled: 1-line block ×4, first 2 shown]
	s_and_saveexec_b32 s12, vcc_lo
	s_cbranch_execz .LBB0_3
; %bb.2:
	v_mad_u64_u32 v[11:12], null, 0xffffd490, s0, v[2:3]
	global_load_dwordx4 v[2:5], v[0:1], off offset:880
	s_clause 0x1
	buffer_load_dword v15, off, s[40:43], 0 offset:48
	buffer_load_dword v16, off, s[40:43], 0 offset:52
	s_mulk_i32 s1, 0xd490
	s_sub_i32 s0, s1, s0
	v_add_nc_u32_e32 v12, s0, v12
	v_add_co_u32 v13, s0, v11, s6
	v_add_co_ci_u32_e64 v14, s0, s7, v12, s0
	s_waitcnt vmcnt(0)
	s_clause 0x1
	global_load_dwordx4 v[7:10], v[15:16], off offset:32
	global_load_dwordx4 v[44:47], v[15:16], off offset:1232
	s_clause 0x1
	buffer_load_dword v17, off, s[40:43], 0 offset:40
	buffer_load_dword v18, off, s[40:43], 0 offset:44
	v_add_co_u32 v15, s0, v13, s6
	v_add_co_ci_u32_e64 v16, s0, s7, v14, s0
	s_waitcnt vmcnt(0)
	s_clause 0x1
	global_load_dwordx4 v[48:51], v[17:18], off offset:384
	global_load_dwordx4 v[52:55], v[17:18], off offset:1584
	s_clause 0x1
	buffer_load_dword v19, off, s[40:43], 0 offset:32
	buffer_load_dword v20, off, s[40:43], 0 offset:36
	;; [unrolled: 9-line block ×3, first 2 shown]
	global_load_dwordx4 v[68:71], v[11:12], off
	global_load_dwordx4 v[72:75], v[13:14], off
	;; [unrolled: 1-line block ×4, first 2 shown]
	s_waitcnt vmcnt(4)
	global_load_dwordx4 v[64:67], v[19:20], off offset:1088
	v_add_co_u32 v19, s0, v17, s6
	v_add_co_ci_u32_e64 v20, s0, s7, v18, s0
	s_waitcnt vmcnt(1)
	v_mul_f64 v[21:22], v[80:81], v[50:51]
	v_add_co_u32 v11, s0, v19, s6
	v_add_co_ci_u32_e64 v12, s0, s7, v20, s0
	v_add_co_u32 v13, s0, v11, s6
	v_add_co_ci_u32_e64 v14, s0, s7, v12, s0
	;; [unrolled: 2-line block ×4, first 2 shown]
	global_load_dwordx4 v[84:87], v[19:20], off
	global_load_dwordx4 v[88:91], v[11:12], off
	;; [unrolled: 1-line block ×5, first 2 shown]
	v_add_co_u32 v11, s0, v17, s6
	v_add_co_ci_u32_e64 v12, s0, s7, v18, s0
	s_clause 0x1
	buffer_load_dword v17, off, s[40:43], 0 offset:16
	buffer_load_dword v18, off, s[40:43], 0 offset:20
	v_add_co_u32 v13, s0, 0x3000, v0
	v_add_co_ci_u32_e64 v14, s0, 0, v1, s0
	v_add_co_u32 v15, s0, v11, s6
	v_add_co_ci_u32_e64 v16, s0, s7, v12, s0
	v_mul_f64 v[19:20], v[82:83], v[50:51]
	s_waitcnt vmcnt(0)
	global_load_dwordx4 v[104:107], v[17:18], off offset:240
	global_load_dwordx4 v[108:111], v[11:12], off
	s_clause 0x1
	global_load_dwordx4 v[112:115], v[17:18], off offset:1440
	global_load_dwordx4 v[116:119], v[13:14], off offset:592
	global_load_dwordx4 v[120:123], v[15:16], off
	v_mul_f64 v[11:12], v[70:71], v[4:5]
	v_mul_f64 v[4:5], v[68:69], v[4:5]
	;; [unrolled: 1-line block ×14, first 2 shown]
	v_fma_f64 v[46:47], v[82:83], v[48:49], -v[21:22]
	v_fma_f64 v[66:67], v[68:69], v[2:3], v[11:12]
	v_fma_f64 v[68:69], v[70:71], v[2:3], -v[4:5]
	v_fma_f64 v[2:3], v[72:73], v[7:8], v[13:14]
	;; [unrolled: 2-line block ×4, first 2 shown]
	v_fma_f64 v[48:49], v[84:85], v[52:53], v[23:24]
	v_fma_f64 v[50:51], v[86:87], v[52:53], -v[25:26]
	v_fma_f64 v[52:53], v[88:89], v[56:57], v[27:28]
	v_fma_f64 v[54:55], v[90:91], v[56:57], -v[29:30]
	v_fma_f64 v[56:57], v[92:93], v[60:61], v[58:59]
	v_fma_f64 v[58:59], v[94:95], v[60:61], -v[62:63]
	v_fma_f64 v[60:61], v[96:97], v[64:65], v[124:125]
	v_fma_f64 v[62:63], v[98:99], v[64:65], -v[126:127]
	s_waitcnt vmcnt(4)
	v_mul_f64 v[128:129], v[102:103], v[106:107]
	v_mul_f64 v[106:107], v[100:101], v[106:107]
	s_waitcnt vmcnt(2)
	v_mul_f64 v[130:131], v[110:111], v[114:115]
	v_mul_f64 v[114:115], v[108:109], v[114:115]
	;; [unrolled: 3-line block ×3, first 2 shown]
	v_fma_f64 v[70:71], v[100:101], v[104:105], v[128:129]
	v_fma_f64 v[72:73], v[102:103], v[104:105], -v[106:107]
	v_fma_f64 v[74:75], v[108:109], v[112:113], v[130:131]
	v_fma_f64 v[76:77], v[110:111], v[112:113], -v[114:115]
	;; [unrolled: 2-line block ×3, first 2 shown]
	ds_write_b128 v6, v[66:69] offset:880
	ds_write_b128 v6, v[2:5] offset:2080
	ds_write_b128 v6, v[7:10] offset:3280
	ds_write_b128 v6, v[44:47] offset:4480
	ds_write_b128 v6, v[48:51] offset:5680
	ds_write_b128 v6, v[52:55] offset:6880
	ds_write_b128 v6, v[56:59] offset:8080
	ds_write_b128 v6, v[60:63] offset:9280
	ds_write_b128 v6, v[70:73] offset:10480
	ds_write_b128 v6, v[74:77] offset:11680
	ds_write_b128 v6, v[78:81] offset:12880
.LBB0_3:
	s_or_b32 exec_lo, exec_lo, s12
	s_waitcnt lgkmcnt(0)
	s_waitcnt_vscnt null, 0x0
	s_barrier
	buffer_gl0_inv
	ds_read_b128 v[68:71], v6
	ds_read_b128 v[72:75], v6 offset:1200
	ds_read_b128 v[92:95], v6 offset:2400
	;; [unrolled: 1-line block ×10, first 2 shown]
	s_load_dwordx2 s[4:5], s[4:5], 0x8
                                        ; implicit-def: $vgpr44_vgpr45
                                        ; implicit-def: $vgpr48_vgpr49
                                        ; implicit-def: $vgpr64_vgpr65
                                        ; implicit-def: $vgpr84_vgpr85
                                        ; implicit-def: $vgpr112_vgpr113
                                        ; implicit-def: $vgpr88_vgpr89
                                        ; implicit-def: $vgpr80_vgpr81
                                        ; implicit-def: $vgpr76_vgpr77
                                        ; implicit-def: $vgpr56_vgpr57
                                        ; implicit-def: $vgpr52_vgpr53
                                        ; implicit-def: $vgpr60_vgpr61
	s_and_saveexec_b32 s0, vcc_lo
	s_cbranch_execz .LBB0_5
; %bb.4:
	ds_read_b128 v[44:47], v6 offset:880
	ds_read_b128 v[48:51], v6 offset:2080
	;; [unrolled: 1-line block ×11, first 2 shown]
.LBB0_5:
	s_or_b32 exec_lo, exec_lo, s0
	s_waitcnt lgkmcnt(0)
	v_add_f64 v[2:3], v[68:69], v[72:73]
	v_add_f64 v[4:5], v[70:71], v[74:75]
	v_add_f64 v[9:10], v[74:75], -v[98:99]
	v_add_f64 v[15:16], v[72:73], -v[96:97]
	s_mov_b32 s24, 0xf8bb580b
	s_mov_b32 s26, 0x8eee2c13
	;; [unrolled: 1-line block ×10, first 2 shown]
	v_add_f64 v[142:143], v[116:117], v[120:121]
	v_add_f64 v[144:145], v[118:119], v[122:123]
	v_add_f64 v[150:151], v[116:117], -v[120:121]
	v_add_f64 v[152:153], v[118:119], -v[122:123]
	v_add_f64 v[11:12], v[72:73], v[96:97]
	v_add_f64 v[13:14], v[74:75], v[98:99]
	s_mov_b32 s0, 0x8764f0ba
	s_mov_b32 s16, 0xd9c712b6
	v_add_f64 v[2:3], v[2:3], v[92:93]
	v_add_f64 v[4:5], v[4:5], v[94:95]
	v_mul_f64 v[17:18], v[9:10], s[18:19]
	v_mul_f64 v[19:20], v[9:10], s[20:21]
	;; [unrolled: 1-line block ×3, first 2 shown]
	s_mov_b32 s14, 0x640f44db
	s_mov_b32 s6, 0x7f775887
	;; [unrolled: 1-line block ×8, first 2 shown]
	v_add_f64 v[148:149], v[106:107], v[110:111]
	v_add_f64 v[156:157], v[106:107], -v[110:111]
	v_mul_f64 v[72:73], v[15:16], s[26:27]
	v_add_f64 v[146:147], v[104:105], v[108:109]
	v_add_f64 v[154:155], v[104:105], -v[108:109]
	v_add_f64 v[136:137], v[130:131], -v[126:127]
	v_add_f64 v[138:139], v[128:129], v[124:125]
	v_add_f64 v[140:141], v[130:131], v[126:127]
	s_mov_b32 s35, 0x3fd207e7
	v_add_f64 v[2:3], v[2:3], v[104:105]
	v_add_f64 v[4:5], v[4:5], v[106:107]
	;; [unrolled: 1-line block ×3, first 2 shown]
	v_add_f64 v[94:95], v[94:95], -v[102:103]
	v_fma_f64 v[25:26], v[11:12], s[14:15], -v[17:18]
	v_fma_f64 v[17:18], v[11:12], s[14:15], v[17:18]
	v_fma_f64 v[27:28], v[11:12], s[6:7], -v[19:20]
	v_fma_f64 v[19:20], v[11:12], s[6:7], v[19:20]
	v_add_f64 v[104:105], v[92:93], v[100:101]
	v_add_f64 v[92:93], v[92:93], -v[100:101]
	s_mov_b32 s34, s22
	s_mov_b32 s31, 0x3fefac9e
	;; [unrolled: 1-line block ×7, first 2 shown]
	v_add_f64 v[166:167], v[48:49], v[60:61]
	v_add_f64 v[160:161], v[64:65], v[52:53]
	;; [unrolled: 1-line block ×14, first 2 shown]
	v_add_f64 v[2:3], v[128:129], -v[124:125]
	v_mul_f64 v[128:129], v[136:137], s[22:23]
	v_add_f64 v[7:8], v[7:8], v[124:125]
	v_add_f64 v[4:5], v[4:5], v[126:127]
	;; [unrolled: 1-line block ×8, first 2 shown]
	v_fma_f64 v[102:103], v[13:14], s[14:15], v[74:75]
	v_fma_f64 v[74:75], v[13:14], s[14:15], -v[74:75]
	v_fma_f64 v[100:101], v[13:14], s[16:17], v[72:73]
	v_fma_f64 v[72:73], v[13:14], s[16:17], -v[72:73]
	v_add_f64 v[116:117], v[7:8], v[96:97]
	v_add_f64 v[118:119], v[4:5], v[98:99]
	v_mul_f64 v[4:5], v[9:10], s[24:25]
	v_mul_f64 v[7:8], v[9:10], s[26:27]
	;; [unrolled: 1-line block ×4, first 2 shown]
	v_add_f64 v[158:159], v[70:71], v[74:75]
	v_add_f64 v[102:103], v[70:71], v[102:103]
	v_fma_f64 v[21:22], v[11:12], s[0:1], -v[4:5]
	v_fma_f64 v[4:5], v[11:12], s[0:1], v[4:5]
	v_fma_f64 v[23:24], v[11:12], s[16:17], -v[7:8]
	v_fma_f64 v[7:8], v[11:12], s[16:17], v[7:8]
	;; [unrolled: 2-line block ×3, first 2 shown]
	v_mul_f64 v[11:12], v[15:16], s[24:25]
	v_mul_f64 v[15:16], v[15:16], s[22:23]
	v_fma_f64 v[108:109], v[13:14], s[6:7], v[96:97]
	v_fma_f64 v[96:97], v[13:14], s[6:7], -v[96:97]
	v_add_f64 v[4:5], v[68:69], v[4:5]
	v_add_f64 v[23:24], v[68:69], v[23:24]
	;; [unrolled: 1-line block ×4, first 2 shown]
	v_fma_f64 v[98:99], v[13:14], s[0:1], v[11:12]
	v_fma_f64 v[11:12], v[13:14], s[0:1], -v[11:12]
	v_fma_f64 v[110:111], v[13:14], s[12:13], v[15:16]
	v_fma_f64 v[13:14], v[13:14], s[12:13], -v[15:16]
	v_add_f64 v[15:16], v[68:69], v[21:22]
	v_add_f64 v[68:69], v[68:69], v[9:10]
	v_mul_f64 v[9:10], v[94:95], s[26:27]
	v_add_f64 v[108:109], v[70:71], v[108:109]
	v_add_f64 v[96:97], v[70:71], v[96:97]
	;; [unrolled: 1-line block ×8, first 2 shown]
	v_fma_f64 v[13:14], v[104:105], s[16:17], -v[9:10]
	v_fma_f64 v[9:10], v[104:105], s[16:17], v[9:10]
	v_add_f64 v[13:14], v[13:14], v[15:16]
	v_mul_f64 v[15:16], v[92:93], s[26:27]
	v_add_f64 v[4:5], v[9:10], v[4:5]
	v_fma_f64 v[29:30], v[106:107], s[16:17], v[15:16]
	v_fma_f64 v[9:10], v[106:107], s[16:17], -v[15:16]
	v_mul_f64 v[15:16], v[156:157], s[34:35]
	v_add_f64 v[21:22], v[29:30], v[21:22]
	v_mul_f64 v[29:30], v[156:157], s[18:19]
	v_add_f64 v[9:10], v[9:10], v[11:12]
	v_fma_f64 v[110:111], v[146:147], s[14:15], -v[29:30]
	v_fma_f64 v[11:12], v[146:147], s[14:15], v[29:30]
	v_add_f64 v[13:14], v[110:111], v[13:14]
	v_mul_f64 v[110:111], v[154:155], s[18:19]
	v_add_f64 v[4:5], v[11:12], v[4:5]
	v_fma_f64 v[120:121], v[148:149], s[14:15], v[110:111]
	v_fma_f64 v[11:12], v[148:149], s[14:15], -v[110:111]
	v_add_f64 v[21:22], v[120:121], v[21:22]
	v_mul_f64 v[120:121], v[152:153], s[20:21]
	v_add_f64 v[9:10], v[11:12], v[9:10]
	v_fma_f64 v[122:123], v[142:143], s[6:7], -v[120:121]
	v_fma_f64 v[11:12], v[142:143], s[6:7], v[120:121]
	v_add_f64 v[13:14], v[122:123], v[13:14]
	v_mul_f64 v[122:123], v[150:151], s[20:21]
	v_add_f64 v[4:5], v[11:12], v[4:5]
	v_fma_f64 v[124:125], v[144:145], s[6:7], v[122:123]
	v_fma_f64 v[11:12], v[144:145], s[6:7], -v[122:123]
	v_add_f64 v[21:22], v[124:125], v[21:22]
	v_fma_f64 v[124:125], v[138:139], s[12:13], -v[128:129]
	v_add_f64 v[9:10], v[11:12], v[9:10]
	v_fma_f64 v[11:12], v[138:139], s[12:13], v[128:129]
	v_add_f64 v[124:125], v[124:125], v[13:14]
	v_mul_f64 v[13:14], v[2:3], s[22:23]
	v_add_f64 v[120:121], v[11:12], v[4:5]
	v_mul_f64 v[4:5], v[94:95], s[20:21]
	v_mul_f64 v[11:12], v[92:93], s[20:21]
	v_fma_f64 v[126:127], v[140:141], s[12:13], v[13:14]
	v_fma_f64 v[13:14], v[140:141], s[12:13], -v[13:14]
	v_add_f64 v[126:127], v[126:127], v[21:22]
	v_add_f64 v[122:123], v[13:14], v[9:10]
	v_fma_f64 v[9:10], v[104:105], s[6:7], -v[4:5]
	v_fma_f64 v[21:22], v[146:147], s[12:13], -v[15:16]
	v_fma_f64 v[13:14], v[106:107], s[6:7], v[11:12]
	v_fma_f64 v[4:5], v[104:105], s[6:7], v[4:5]
	v_add_f64 v[9:10], v[9:10], v[23:24]
	v_add_f64 v[13:14], v[13:14], v[98:99]
	;; [unrolled: 1-line block ×3, first 2 shown]
	v_fma_f64 v[7:8], v[106:107], s[6:7], -v[11:12]
	v_fma_f64 v[11:12], v[146:147], s[12:13], v[15:16]
	v_add_f64 v[9:10], v[21:22], v[9:10]
	v_mul_f64 v[21:22], v[154:155], s[34:35]
	v_add_f64 v[7:8], v[7:8], v[100:101]
	v_add_f64 v[4:5], v[11:12], v[4:5]
	v_fma_f64 v[23:24], v[148:149], s[12:13], v[21:22]
	v_fma_f64 v[11:12], v[148:149], s[12:13], -v[21:22]
	v_add_f64 v[13:14], v[23:24], v[13:14]
	v_mul_f64 v[23:24], v[152:153], s[30:31]
	v_add_f64 v[7:8], v[11:12], v[7:8]
	v_fma_f64 v[29:30], v[142:143], s[14:15], -v[23:24]
	v_fma_f64 v[11:12], v[142:143], s[14:15], v[23:24]
	v_add_f64 v[9:10], v[29:30], v[9:10]
	v_mul_f64 v[29:30], v[150:151], s[30:31]
	v_add_f64 v[4:5], v[11:12], v[4:5]
	v_fma_f64 v[98:99], v[144:145], s[14:15], v[29:30]
	v_fma_f64 v[11:12], v[144:145], s[14:15], -v[29:30]
	v_add_f64 v[13:14], v[98:99], v[13:14]
	v_mul_f64 v[98:99], v[136:137], s[28:29]
	v_add_f64 v[7:8], v[11:12], v[7:8]
	v_fma_f64 v[110:111], v[138:139], s[0:1], -v[98:99]
	v_fma_f64 v[11:12], v[138:139], s[0:1], v[98:99]
	v_add_f64 v[128:129], v[110:111], v[9:10]
	v_mul_f64 v[9:10], v[2:3], s[28:29]
	v_add_f64 v[132:133], v[11:12], v[4:5]
	v_mul_f64 v[4:5], v[94:95], s[34:35]
	v_fma_f64 v[110:111], v[140:141], s[0:1], v[9:10]
	v_fma_f64 v[9:10], v[140:141], s[0:1], -v[9:10]
	v_add_f64 v[130:131], v[110:111], v[13:14]
	v_add_f64 v[134:135], v[9:10], v[7:8]
	v_fma_f64 v[7:8], v[104:105], s[12:13], -v[4:5]
	v_mul_f64 v[13:14], v[156:157], s[36:37]
	v_mul_f64 v[9:10], v[92:93], s[34:35]
	v_fma_f64 v[4:5], v[104:105], s[12:13], v[4:5]
	v_add_f64 v[7:8], v[7:8], v[25:26]
	v_fma_f64 v[15:16], v[146:147], s[16:17], -v[13:14]
	v_fma_f64 v[11:12], v[106:107], s[12:13], v[9:10]
	v_add_f64 v[4:5], v[4:5], v[17:18]
	v_fma_f64 v[9:10], v[106:107], s[12:13], -v[9:10]
	v_add_f64 v[7:8], v[15:16], v[7:8]
	v_mul_f64 v[15:16], v[154:155], s[36:37]
	v_add_f64 v[11:12], v[11:12], v[102:103]
	v_add_f64 v[9:10], v[9:10], v[158:159]
	;; [unrolled: 1-line block ×3, first 2 shown]
	v_fma_f64 v[21:22], v[148:149], s[16:17], v[15:16]
	v_add_f64 v[11:12], v[21:22], v[11:12]
	v_mul_f64 v[21:22], v[152:153], s[24:25]
	v_fma_f64 v[23:24], v[142:143], s[0:1], -v[21:22]
	v_add_f64 v[7:8], v[23:24], v[7:8]
	v_mul_f64 v[23:24], v[150:151], s[24:25]
	v_fma_f64 v[25:26], v[144:145], s[0:1], v[23:24]
	v_add_f64 v[11:12], v[25:26], v[11:12]
	v_mul_f64 v[25:26], v[136:137], s[20:21]
	v_fma_f64 v[29:30], v[138:139], s[6:7], -v[25:26]
	v_add_f64 v[214:215], v[29:30], v[7:8]
	v_mul_f64 v[7:8], v[2:3], s[20:21]
	v_fma_f64 v[29:30], v[140:141], s[6:7], v[7:8]
	v_fma_f64 v[7:8], v[140:141], s[6:7], -v[7:8]
	v_add_f64 v[216:217], v[29:30], v[11:12]
	v_fma_f64 v[11:12], v[146:147], s[16:17], v[13:14]
	v_mul_f64 v[13:14], v[156:157], s[24:25]
	v_add_f64 v[4:5], v[11:12], v[4:5]
	v_fma_f64 v[11:12], v[148:149], s[16:17], -v[15:16]
	v_fma_f64 v[15:16], v[146:147], s[0:1], -v[13:14]
	v_add_f64 v[9:10], v[11:12], v[9:10]
	v_fma_f64 v[11:12], v[142:143], s[0:1], v[21:22]
	v_add_f64 v[4:5], v[11:12], v[4:5]
	v_fma_f64 v[11:12], v[144:145], s[0:1], -v[23:24]
	v_add_f64 v[9:10], v[11:12], v[9:10]
	v_fma_f64 v[11:12], v[138:139], s[6:7], v[25:26]
	v_add_f64 v[220:221], v[7:8], v[9:10]
	v_add_f64 v[218:219], v[11:12], v[4:5]
	v_mul_f64 v[4:5], v[94:95], s[30:31]
	v_mul_f64 v[9:10], v[92:93], s[30:31]
	v_fma_f64 v[7:8], v[104:105], s[14:15], -v[4:5]
	v_fma_f64 v[11:12], v[106:107], s[14:15], v[9:10]
	v_fma_f64 v[4:5], v[104:105], s[14:15], v[4:5]
	v_fma_f64 v[9:10], v[106:107], s[14:15], -v[9:10]
	v_add_f64 v[7:8], v[7:8], v[27:28]
	v_add_f64 v[11:12], v[11:12], v[108:109]
	;; [unrolled: 1-line block ×5, first 2 shown]
	v_mul_f64 v[15:16], v[154:155], s[24:25]
	v_fma_f64 v[17:18], v[148:149], s[0:1], v[15:16]
	v_add_f64 v[11:12], v[17:18], v[11:12]
	v_mul_f64 v[17:18], v[152:153], s[22:23]
	v_fma_f64 v[21:22], v[142:143], s[12:13], -v[17:18]
	v_add_f64 v[7:8], v[21:22], v[7:8]
	v_mul_f64 v[21:22], v[150:151], s[22:23]
	v_fma_f64 v[23:24], v[144:145], s[12:13], v[21:22]
	v_add_f64 v[11:12], v[23:24], v[11:12]
	v_mul_f64 v[23:24], v[136:137], s[36:37]
	v_fma_f64 v[25:26], v[138:139], s[16:17], -v[23:24]
	v_add_f64 v[222:223], v[25:26], v[7:8]
	v_mul_f64 v[7:8], v[2:3], s[36:37]
	v_mul_f64 v[2:3], v[2:3], s[18:19]
	v_fma_f64 v[25:26], v[140:141], s[16:17], v[7:8]
	v_fma_f64 v[7:8], v[140:141], s[16:17], -v[7:8]
	v_add_f64 v[224:225], v[25:26], v[11:12]
	v_fma_f64 v[11:12], v[146:147], s[0:1], v[13:14]
	v_mul_f64 v[13:14], v[156:157], s[20:21]
	v_add_f64 v[156:157], v[114:115], v[78:79]
	v_add_f64 v[4:5], v[11:12], v[4:5]
	v_fma_f64 v[11:12], v[148:149], s[0:1], -v[15:16]
	v_fma_f64 v[15:16], v[146:147], s[6:7], -v[13:14]
	v_add_f64 v[9:10], v[11:12], v[9:10]
	v_fma_f64 v[11:12], v[142:143], s[12:13], v[17:18]
	v_add_f64 v[4:5], v[11:12], v[4:5]
	v_fma_f64 v[11:12], v[144:145], s[12:13], -v[21:22]
	v_add_f64 v[9:10], v[11:12], v[9:10]
	v_fma_f64 v[11:12], v[138:139], s[16:17], v[23:24]
	v_add_f64 v[228:229], v[7:8], v[9:10]
	v_add_f64 v[226:227], v[11:12], v[4:5]
	v_mul_f64 v[4:5], v[94:95], s[28:29]
	v_mul_f64 v[9:10], v[92:93], s[28:29]
	v_fma_f64 v[7:8], v[104:105], s[0:1], -v[4:5]
	v_fma_f64 v[11:12], v[106:107], s[0:1], v[9:10]
	v_fma_f64 v[4:5], v[104:105], s[0:1], v[4:5]
	v_add_f64 v[7:8], v[7:8], v[74:75]
	v_add_f64 v[11:12], v[11:12], v[72:73]
	;; [unrolled: 1-line block ×4, first 2 shown]
	v_mul_f64 v[15:16], v[154:155], s[20:21]
	v_add_f64 v[154:155], v[112:113], v[76:77]
	v_fma_f64 v[17:18], v[148:149], s[6:7], v[15:16]
	v_add_f64 v[11:12], v[17:18], v[11:12]
	v_mul_f64 v[17:18], v[152:153], s[36:37]
	v_fma_f64 v[19:20], v[142:143], s[16:17], -v[17:18]
	v_add_f64 v[7:8], v[19:20], v[7:8]
	v_mul_f64 v[19:20], v[150:151], s[36:37]
	v_fma_f64 v[21:22], v[144:145], s[16:17], v[19:20]
	v_add_f64 v[11:12], v[21:22], v[11:12]
	v_mul_f64 v[21:22], v[136:137], s[18:19]
	v_fma_f64 v[23:24], v[138:139], s[14:15], -v[21:22]
	v_add_f64 v[230:231], v[23:24], v[7:8]
	v_fma_f64 v[7:8], v[140:141], s[14:15], v[2:3]
	v_fma_f64 v[2:3], v[140:141], s[14:15], -v[2:3]
	v_add_f64 v[232:233], v[7:8], v[11:12]
	v_fma_f64 v[7:8], v[106:107], s[0:1], -v[9:10]
	v_fma_f64 v[9:10], v[146:147], s[6:7], v[13:14]
	v_fma_f64 v[11:12], v[148:149], s[6:7], -v[15:16]
	v_add_f64 v[13:14], v[64:65], -v[52:53]
	v_add_f64 v[148:149], v[88:89], v[80:81]
	v_add_f64 v[7:8], v[7:8], v[70:71]
	v_add_f64 v[4:5], v[9:10], v[4:5]
	v_fma_f64 v[9:10], v[142:143], s[16:17], v[17:18]
	v_mul_f64 v[152:153], v[13:14], s[26:27]
	v_mul_f64 v[190:191], v[13:14], s[20:21]
	;; [unrolled: 1-line block ×5, first 2 shown]
	v_add_f64 v[7:8], v[11:12], v[7:8]
	v_fma_f64 v[11:12], v[144:145], s[16:17], -v[19:20]
	v_add_f64 v[4:5], v[9:10], v[4:5]
	v_fma_f64 v[9:10], v[138:139], s[14:15], v[21:22]
	v_fma_f64 v[15:16], v[172:173], s[16:17], -v[152:153]
	v_add_f64 v[19:20], v[84:85], -v[56:57]
	v_add_f64 v[21:22], v[114:115], -v[78:79]
	v_fma_f64 v[29:30], v[172:173], s[6:7], -v[190:191]
	v_fma_f64 v[98:99], v[172:173], s[14:15], v[102:103]
	v_add_f64 v[7:8], v[11:12], v[7:8]
	v_add_f64 v[234:235], v[9:10], v[4:5]
	v_add_f64 v[4:5], v[50:51], -v[62:63]
	v_mul_f64 v[146:147], v[19:20], s[18:19]
	v_mul_f64 v[184:185], v[19:20], s[34:35]
	;; [unrolled: 1-line block ×8, first 2 shown]
	v_add_f64 v[236:237], v[2:3], v[7:8]
	v_add_f64 v[7:8], v[66:67], -v[54:55]
	v_mul_f64 v[150:151], v[4:5], s[24:25]
	v_mul_f64 v[192:193], v[4:5], s[26:27]
	;; [unrolled: 1-line block ×5, first 2 shown]
	v_fma_f64 v[2:3], v[166:167], s[0:1], v[150:151]
	v_mul_f64 v[206:207], v[7:8], s[34:35]
	v_fma_f64 v[9:10], v[160:161], s[16:17], v[142:143]
	v_add_f64 v[2:3], v[44:45], v[2:3]
	v_add_f64 v[2:3], v[9:10], v[2:3]
	v_add_f64 v[9:10], v[48:49], -v[60:61]
	v_mul_f64 v[162:163], v[9:10], s[24:25]
	v_mul_f64 v[200:201], v[9:10], s[26:27]
	;; [unrolled: 1-line block ×5, first 2 shown]
	v_fma_f64 v[11:12], v[174:175], s[0:1], -v[162:163]
	v_add_f64 v[11:12], v[46:47], v[11:12]
	v_add_f64 v[11:12], v[15:16], v[11:12]
	v_add_f64 v[15:16], v[86:87], -v[58:59]
	v_mul_f64 v[140:141], v[15:16], s[18:19]
	v_mul_f64 v[182:183], v[15:16], s[34:35]
	;; [unrolled: 1-line block ×5, first 2 shown]
	v_fma_f64 v[17:18], v[164:165], s[14:15], v[140:141]
	v_add_f64 v[17:18], v[17:18], v[2:3]
	v_fma_f64 v[2:3], v[168:169], s[14:15], -v[146:147]
	v_add_f64 v[11:12], v[2:3], v[11:12]
	v_mul_f64 v[2:3], v[21:22], s[20:21]
	v_mul_f64 v[21:22], v[21:22], s[36:37]
	v_fma_f64 v[23:24], v[154:155], s[6:7], v[2:3]
	v_add_f64 v[17:18], v[23:24], v[17:18]
	v_add_f64 v[23:24], v[112:113], -v[76:77]
	v_mul_f64 v[138:139], v[23:24], s[20:21]
	v_mul_f64 v[180:181], v[23:24], s[30:31]
	;; [unrolled: 1-line block ×5, first 2 shown]
	v_fma_f64 v[25:26], v[156:157], s[6:7], -v[138:139]
	v_add_f64 v[11:12], v[25:26], v[11:12]
	v_add_f64 v[25:26], v[90:91], -v[82:83]
	v_mul_f64 v[136:137], v[25:26], s[22:23]
	v_mul_f64 v[170:171], v[25:26], s[28:29]
	;; [unrolled: 1-line block ×5, first 2 shown]
	v_fma_f64 v[27:28], v[148:149], s[12:13], v[136:137]
	v_add_f64 v[33:34], v[27:28], v[17:18]
	v_add_f64 v[17:18], v[88:89], -v[80:81]
	v_mul_f64 v[144:145], v[17:18], s[22:23]
	v_mul_f64 v[178:179], v[17:18], s[28:29]
	;; [unrolled: 1-line block ×3, first 2 shown]
	v_fma_f64 v[27:28], v[158:159], s[12:13], -v[144:145]
	v_add_f64 v[35:36], v[27:28], v[11:12]
	v_fma_f64 v[11:12], v[166:167], s[16:17], v[192:193]
	v_fma_f64 v[27:28], v[160:161], s[6:7], v[186:187]
	buffer_store_dword v33, off, s[40:43], 0 ; 4-byte Folded Spill
	buffer_store_dword v34, off, s[40:43], 0 offset:4 ; 4-byte Folded Spill
	buffer_store_dword v35, off, s[40:43], 0 offset:8 ; 4-byte Folded Spill
	;; [unrolled: 1-line block ×3, first 2 shown]
	v_add_f64 v[11:12], v[44:45], v[11:12]
	s_waitcnt_vscnt null, 0x0
	s_barrier
	buffer_gl0_inv
	v_add_f64 v[11:12], v[27:28], v[11:12]
	v_fma_f64 v[27:28], v[174:175], s[16:17], -v[200:201]
	v_add_f64 v[27:28], v[46:47], v[27:28]
	v_add_f64 v[27:28], v[29:30], v[27:28]
	v_fma_f64 v[29:30], v[164:165], s[12:13], v[182:183]
	v_add_f64 v[11:12], v[29:30], v[11:12]
	v_fma_f64 v[29:30], v[168:169], s[12:13], -v[184:185]
	v_add_f64 v[27:28], v[29:30], v[27:28]
	v_fma_f64 v[29:30], v[154:155], s[14:15], v[176:177]
	v_add_f64 v[11:12], v[29:30], v[11:12]
	v_fma_f64 v[29:30], v[156:157], s[14:15], -v[180:181]
	;; [unrolled: 4-line block ×3, first 2 shown]
	v_fma_f64 v[29:30], v[172:173], s[12:13], -v[208:209]
	v_add_f64 v[74:75], v[11:12], v[27:28]
	v_fma_f64 v[11:12], v[166:167], s[14:15], v[210:211]
	v_fma_f64 v[27:28], v[160:161], s[12:13], v[206:207]
	v_add_f64 v[11:12], v[44:45], v[11:12]
	v_add_f64 v[11:12], v[27:28], v[11:12]
	v_fma_f64 v[27:28], v[174:175], s[14:15], -v[212:213]
	v_add_f64 v[27:28], v[46:47], v[27:28]
	v_add_f64 v[27:28], v[29:30], v[27:28]
	v_fma_f64 v[29:30], v[164:165], s[16:17], v[202:203]
	v_add_f64 v[11:12], v[29:30], v[11:12]
	v_fma_f64 v[29:30], v[168:169], s[16:17], -v[204:205]
	v_add_f64 v[27:28], v[29:30], v[27:28]
	v_fma_f64 v[29:30], v[154:155], s[0:1], v[196:197]
	v_add_f64 v[11:12], v[29:30], v[11:12]
	v_fma_f64 v[29:30], v[156:157], s[0:1], -v[198:199]
	;; [unrolled: 4-line block ×3, first 2 shown]
	v_mul_f64 v[29:30], v[7:8], s[30:31]
	v_mul_f64 v[7:8], v[7:8], s[28:29]
	v_add_f64 v[94:95], v[11:12], v[27:28]
	v_mul_f64 v[11:12], v[4:5], s[20:21]
	v_fma_f64 v[96:97], v[160:161], s[14:15], -v[29:30]
	v_fma_f64 v[29:30], v[160:161], s[14:15], v[29:30]
	v_mul_f64 v[4:5], v[4:5], s[22:23]
	v_fma_f64 v[27:28], v[166:167], s[6:7], -v[11:12]
	v_fma_f64 v[11:12], v[166:167], s[6:7], v[11:12]
	v_add_f64 v[27:28], v[44:45], v[27:28]
	v_add_f64 v[11:12], v[44:45], v[11:12]
	;; [unrolled: 1-line block ×3, first 2 shown]
	v_fma_f64 v[96:97], v[174:175], s[6:7], v[100:101]
	v_add_f64 v[11:12], v[29:30], v[11:12]
	v_fma_f64 v[29:30], v[174:175], s[6:7], -v[100:101]
	v_fma_f64 v[100:101], v[172:173], s[14:15], -v[102:103]
	v_add_f64 v[96:97], v[46:47], v[96:97]
	v_add_f64 v[29:30], v[46:47], v[29:30]
	;; [unrolled: 1-line block ×3, first 2 shown]
	v_fma_f64 v[98:99], v[164:165], s[0:1], -v[104:105]
	v_add_f64 v[29:30], v[100:101], v[29:30]
	v_fma_f64 v[100:101], v[164:165], s[0:1], v[104:105]
	v_add_f64 v[27:28], v[98:99], v[27:28]
	v_fma_f64 v[98:99], v[168:169], s[0:1], v[106:107]
	v_add_f64 v[11:12], v[100:101], v[11:12]
	v_fma_f64 v[100:101], v[168:169], s[0:1], -v[106:107]
	v_add_f64 v[96:97], v[98:99], v[96:97]
	v_fma_f64 v[98:99], v[154:155], s[12:13], -v[108:109]
	v_add_f64 v[29:30], v[100:101], v[29:30]
	v_fma_f64 v[100:101], v[154:155], s[12:13], v[108:109]
	v_add_f64 v[27:28], v[98:99], v[27:28]
	v_fma_f64 v[98:99], v[156:157], s[12:13], v[110:111]
	v_add_f64 v[11:12], v[100:101], v[11:12]
	v_fma_f64 v[100:101], v[156:157], s[12:13], -v[110:111]
	v_add_f64 v[98:99], v[98:99], v[96:97]
	v_fma_f64 v[96:97], v[148:149], s[16:17], -v[238:239]
	v_add_f64 v[29:30], v[100:101], v[29:30]
	v_fma_f64 v[100:101], v[148:149], s[16:17], v[238:239]
	v_add_f64 v[96:97], v[96:97], v[27:28]
	v_mul_f64 v[27:28], v[17:18], s[36:37]
	v_add_f64 v[100:101], v[100:101], v[11:12]
	v_fma_f64 v[11:12], v[166:167], s[12:13], -v[4:5]
	v_fma_f64 v[4:5], v[166:167], s[12:13], v[4:5]
	v_mul_f64 v[17:18], v[17:18], s[18:19]
	v_fma_f64 v[240:241], v[158:159], s[16:17], v[27:28]
	v_fma_f64 v[27:28], v[158:159], s[16:17], -v[27:28]
	v_add_f64 v[11:12], v[44:45], v[11:12]
	v_add_f64 v[4:5], v[44:45], v[4:5]
	;; [unrolled: 1-line block ×4, first 2 shown]
	v_fma_f64 v[27:28], v[160:161], s[0:1], -v[7:8]
	v_fma_f64 v[29:30], v[172:173], s[0:1], v[13:14]
	v_fma_f64 v[7:8], v[160:161], s[0:1], v[7:8]
	v_add_f64 v[11:12], v[27:28], v[11:12]
	v_fma_f64 v[27:28], v[174:175], s[12:13], v[9:10]
	v_add_f64 v[4:5], v[7:8], v[4:5]
	v_fma_f64 v[7:8], v[174:175], s[12:13], -v[9:10]
	v_fma_f64 v[9:10], v[172:173], s[0:1], -v[13:14]
	v_add_f64 v[27:28], v[46:47], v[27:28]
	v_add_f64 v[7:8], v[46:47], v[7:8]
	;; [unrolled: 1-line block ×3, first 2 shown]
	v_fma_f64 v[29:30], v[164:165], s[6:7], -v[15:16]
	v_add_f64 v[7:8], v[9:10], v[7:8]
	v_fma_f64 v[9:10], v[164:165], s[6:7], v[15:16]
	v_add_f64 v[11:12], v[29:30], v[11:12]
	v_fma_f64 v[29:30], v[168:169], s[6:7], v[19:20]
	v_add_f64 v[4:5], v[9:10], v[4:5]
	v_fma_f64 v[9:10], v[168:169], s[6:7], -v[19:20]
	v_add_f64 v[27:28], v[29:30], v[27:28]
	v_fma_f64 v[29:30], v[154:155], s[16:17], -v[21:22]
	v_add_f64 v[7:8], v[9:10], v[7:8]
	v_fma_f64 v[9:10], v[154:155], s[16:17], v[21:22]
	v_add_f64 v[11:12], v[29:30], v[11:12]
	v_fma_f64 v[29:30], v[156:157], s[16:17], v[23:24]
	v_add_f64 v[4:5], v[9:10], v[4:5]
	v_fma_f64 v[9:10], v[156:157], s[16:17], -v[23:24]
	v_add_f64 v[27:28], v[29:30], v[27:28]
	v_fma_f64 v[29:30], v[148:149], s[14:15], -v[25:26]
	v_add_f64 v[7:8], v[9:10], v[7:8]
	v_fma_f64 v[9:10], v[148:149], s[14:15], v[25:26]
	v_add_f64 v[104:105], v[29:30], v[11:12]
	v_fma_f64 v[11:12], v[158:159], s[14:15], v[17:18]
	v_add_f64 v[108:109], v[9:10], v[4:5]
	v_mul_lo_u16 v4, v32, 11
	v_mov_b32_e32 v10, 4
	v_add_co_u32 v9, s18, v32, 55
	v_add_f64 v[106:107], v[11:12], v[27:28]
	v_fma_f64 v[11:12], v[158:159], s[14:15], -v[17:18]
	v_add_f64 v[110:111], v[11:12], v[7:8]
	v_lshlrev_b32_sdwa v8, v10, v4 dst_sel:DWORD dst_unused:UNUSED_PAD src0_sel:DWORD src1_sel:WORD_0
	v_add_co_ci_u32_e64 v4, null, 0, 0, s18
	v_mul_u32_u24_e32 v4, 11, v9
	ds_write_b128 v8, v[116:119]
	ds_write_b128 v8, v[124:127] offset:16
	ds_write_b128 v8, v[128:131] offset:32
	;; [unrolled: 1-line block ×10, first 2 shown]
	buffer_store_dword v4, off, s[40:43], 0 offset:244 ; 4-byte Folded Spill
	s_and_saveexec_b32 s18, vcc_lo
	s_cbranch_execz .LBB0_7
; %bb.6:
	v_add_f64 v[4:5], v[46:47], v[50:51]
	v_add_f64 v[11:12], v[44:45], v[48:49]
	v_mul_f64 v[15:16], v[166:167], s[14:15]
	v_mul_f64 v[17:18], v[174:175], s[16:17]
	;; [unrolled: 1-line block ×12, first 2 shown]
	v_mul_u32_u24_e32 v7, 11, v9
	v_lshlrev_b32_e32 v7, 4, v7
	v_add_f64 v[4:5], v[4:5], v[66:67]
	v_add_f64 v[11:12], v[11:12], v[64:65]
	v_mul_f64 v[64:65], v[160:161], s[16:17]
	v_add_f64 v[15:16], v[15:16], -v[210:211]
	v_add_f64 v[17:18], v[200:201], v[17:18]
	v_add_f64 v[19:20], v[162:163], v[19:20]
	v_add_f64 v[21:22], v[21:22], -v[150:151]
	v_add_f64 v[13:14], v[212:213], v[13:14]
	v_add_f64 v[23:24], v[23:24], -v[192:193]
	v_mul_f64 v[66:67], v[164:165], s[14:15]
	v_add_f64 v[27:28], v[27:28], -v[206:207]
	v_add_f64 v[29:30], v[190:191], v[29:30]
	v_add_f64 v[50:51], v[152:153], v[50:51]
	;; [unrolled: 1-line block ×3, first 2 shown]
	v_add_f64 v[48:49], v[48:49], -v[186:187]
	v_add_f64 v[4:5], v[4:5], v[86:87]
	v_add_f64 v[11:12], v[11:12], v[84:85]
	v_mul_f64 v[84:85], v[168:169], s[14:15]
	v_add_f64 v[64:65], v[64:65], -v[142:143]
	v_add_f64 v[15:16], v[44:45], v[15:16]
	v_add_f64 v[17:18], v[46:47], v[17:18]
	;; [unrolled: 1-line block ×4, first 2 shown]
	v_mul_f64 v[86:87], v[164:165], s[12:13]
	v_add_f64 v[13:14], v[46:47], v[13:14]
	v_add_f64 v[23:24], v[44:45], v[23:24]
	v_mul_f64 v[44:45], v[154:155], s[6:7]
	v_mul_f64 v[46:47], v[156:157], s[6:7]
	v_add_f64 v[66:67], v[66:67], -v[140:141]
	v_add_f64 v[4:5], v[4:5], v[114:115]
	v_add_f64 v[11:12], v[11:12], v[112:113]
	v_mul_f64 v[112:113], v[168:169], s[16:17]
	v_mul_f64 v[114:115], v[154:155], s[0:1]
	v_add_f64 v[84:85], v[146:147], v[84:85]
	v_add_f64 v[15:16], v[27:28], v[15:16]
	;; [unrolled: 1-line block ×5, first 2 shown]
	v_add_f64 v[86:87], v[86:87], -v[182:183]
	v_add_f64 v[13:14], v[25:26], v[13:14]
	v_add_f64 v[23:24], v[48:49], v[23:24]
	v_mul_f64 v[25:26], v[148:149], s[12:13]
	v_mul_f64 v[27:28], v[158:159], s[12:13]
	;; [unrolled: 1-line block ×4, first 2 shown]
	v_add_f64 v[46:47], v[138:139], v[46:47]
	v_add_f64 v[2:3], v[44:45], -v[2:3]
	v_mul_f64 v[29:30], v[148:149], s[0:1]
	v_mul_f64 v[64:65], v[158:159], s[6:7]
	v_add_f64 v[4:5], v[4:5], v[90:91]
	v_add_f64 v[11:12], v[11:12], v[88:89]
	v_mul_f64 v[88:89], v[168:169], s[12:13]
	v_mul_f64 v[90:91], v[164:165], s[16:17]
	v_add_f64 v[112:113], v[204:205], v[112:113]
	v_add_f64 v[19:20], v[84:85], v[19:20]
	;; [unrolled: 1-line block ×4, first 2 shown]
	v_add_f64 v[25:26], v[25:26], -v[136:137]
	v_add_f64 v[27:28], v[144:145], v[27:28]
	v_add_f64 v[48:49], v[178:179], v[48:49]
	v_add_f64 v[50:51], v[50:51], -v[188:189]
	v_add_f64 v[29:30], v[29:30], -v[170:171]
	v_add_f64 v[44:45], v[194:195], v[64:65]
	v_add_f64 v[4:5], v[4:5], v[82:83]
	;; [unrolled: 1-line block ×3, first 2 shown]
	v_mul_f64 v[82:83], v[156:157], s[14:15]
	v_add_f64 v[90:91], v[90:91], -v[202:203]
	v_add_f64 v[88:89], v[184:185], v[88:89]
	v_mul_f64 v[80:81], v[154:155], s[14:15]
	v_add_f64 v[13:14], v[112:113], v[13:14]
	v_add_f64 v[19:20], v[46:47], v[19:20]
	;; [unrolled: 1-line block ×5, first 2 shown]
	v_add_f64 v[78:79], v[114:115], -v[196:197]
	v_add_f64 v[82:83], v[180:181], v[82:83]
	v_add_f64 v[15:16], v[90:91], v[15:16]
	;; [unrolled: 1-line block ×4, first 2 shown]
	v_add_f64 v[80:81], v[80:81], -v[176:177]
	v_add_f64 v[4:5], v[4:5], v[58:59]
	v_add_f64 v[11:12], v[11:12], v[56:57]
	;; [unrolled: 1-line block ×16, first 2 shown]
	ds_write_b128 v7, v[96:99] offset:64
	ds_write_b128 v7, v[104:107] offset:80
	;; [unrolled: 1-line block ×9, first 2 shown]
	ds_write_b128 v7, v[52:55]
	s_clause 0x3
	buffer_load_dword v2, off, s[40:43], 0
	buffer_load_dword v3, off, s[40:43], 0 offset:4
	buffer_load_dword v4, off, s[40:43], 0 offset:8
	;; [unrolled: 1-line block ×3, first 2 shown]
	s_waitcnt vmcnt(0)
	ds_write_b128 v7, v[2:5] offset:160
.LBB0_7:
	s_or_b32 exec_lo, exec_lo, s18
	v_and_b32_e32 v2, 0xff, v32
	s_waitcnt lgkmcnt(0)
	s_waitcnt_vscnt null, 0x0
	s_barrier
	buffer_gl0_inv
	v_mov_b32_e32 v35, v32
	v_mul_lo_u16 v2, 0x75, v2
	s_mov_b32 s14, 0x134454ff
	s_mov_b32 s15, 0x3fee6f0e
	;; [unrolled: 1-line block ×4, first 2 shown]
	v_lshrrev_b16 v2, 8, v2
	s_mov_b32 s0, 0x4755a5e
	s_mov_b32 s1, 0x3fe2cf23
	;; [unrolled: 1-line block ×4, first 2 shown]
	v_sub_nc_u16 v3, v32, v2
	s_mov_b32 s16, 0x372fe950
	s_mov_b32 s17, 0x3fd3c6ef
	v_lshrrev_b16 v3, 1, v3
	v_and_b32_e32 v3, 0x7f, v3
	v_add_nc_u16 v2, v3, v2
	v_lshrrev_b16 v4, 3, v2
	v_mul_lo_u16 v2, v4, 11
	v_sub_nc_u16 v2, v32, v2
	v_and_b32_e32 v11, 0xff, v2
	v_and_b32_e32 v2, 0xff, v9
	v_lshlrev_b32_e32 v3, 6, v11
	v_mul_lo_u16 v2, 0x75, v2
	s_clause 0x1
	global_load_dwordx4 v[76:79], v3, s[4:5] offset:32
	global_load_dwordx4 v[52:55], v3, s[4:5] offset:48
	v_lshrrev_b16 v2, 8, v2
	s_clause 0x1
	global_load_dwordx4 v[44:47], v3, s[4:5]
	global_load_dwordx4 v[88:91], v3, s[4:5] offset:16
	v_sub_nc_u16 v5, v9, v2
	v_lshrrev_b16 v5, 1, v5
	v_and_b32_e32 v5, 0x7f, v5
	v_add_nc_u16 v2, v5, v2
	v_lshrrev_b16 v5, 3, v2
	v_mul_lo_u16 v2, v5, 11
	v_sub_nc_u16 v2, v9, v2
	v_and_b32_e32 v7, 0xff, v2
	v_lshlrev_b32_e32 v2, 6, v7
	s_clause 0x1
	global_load_dwordx4 v[56:59], v2, s[4:5]
	global_load_dwordx4 v[48:51], v2, s[4:5] offset:16
	ds_read_b128 v[80:83], v6 offset:2640
	ds_read_b128 v[64:67], v6 offset:5280
	;; [unrolled: 1-line block ×7, first 2 shown]
	s_waitcnt vmcnt(5) lgkmcnt(4)
	v_mul_f64 v[20:21], v[62:63], v[78:79]
	v_mul_f64 v[22:23], v[60:61], v[78:79]
	s_waitcnt vmcnt(4) lgkmcnt(0)
	v_mul_f64 v[24:25], v[118:119], v[54:55]
	s_waitcnt vmcnt(3)
	v_mul_f64 v[12:13], v[82:83], v[46:47]
	s_waitcnt vmcnt(2)
	v_mul_f64 v[16:17], v[66:67], v[90:91]
	v_mul_f64 v[18:19], v[64:65], v[90:91]
	;; [unrolled: 1-line block ×4, first 2 shown]
	v_fma_f64 v[20:21], v[60:61], v[76:77], -v[20:21]
	v_fma_f64 v[22:23], v[62:63], v[76:77], v[22:23]
	ds_read_b128 v[60:63], v6 offset:3520
	v_fma_f64 v[12:13], v[80:81], v[44:45], -v[12:13]
	v_fma_f64 v[16:17], v[64:65], v[88:89], -v[16:17]
	v_fma_f64 v[18:19], v[66:67], v[88:89], v[18:19]
	ds_read_b128 v[64:67], v6 offset:4400
	v_fma_f64 v[14:15], v[82:83], v[44:45], v[14:15]
	ds_read_b128 v[80:83], v6 offset:11440
	v_fma_f64 v[24:25], v[116:117], v[52:53], -v[24:25]
	v_fma_f64 v[26:27], v[118:119], v[52:53], v[26:27]
	v_add_f64 v[150:151], v[16:17], -v[20:21]
	v_add_f64 v[146:147], v[18:19], -v[22:23]
	s_waitcnt vmcnt(1) lgkmcnt(2)
	v_mul_f64 v[28:29], v[62:63], v[58:59]
	v_mul_f64 v[30:31], v[60:61], v[58:59]
	v_add_f64 v[148:149], v[12:13], -v[24:25]
	v_add_f64 v[144:145], v[14:15], -v[26:27]
	v_fma_f64 v[28:29], v[60:61], v[56:57], -v[28:29]
	s_waitcnt vmcnt(0)
	v_mul_f64 v[60:61], v[114:115], v[50:51]
	v_fma_f64 v[30:31], v[62:63], v[56:57], v[30:31]
	v_fma_f64 v[156:157], v[112:113], v[48:49], -v[60:61]
	v_mul_f64 v[60:61], v[112:113], v[50:51]
	v_fma_f64 v[158:159], v[114:115], v[48:49], v[60:61]
	s_clause 0x1
	global_load_dwordx4 v[116:119], v2, s[4:5] offset:32
	global_load_dwordx4 v[112:115], v2, s[4:5] offset:48
	ds_read_b128 v[60:63], v6 offset:8800
	ds_read_b128 v[136:139], v6 offset:9680
	s_waitcnt vmcnt(1) lgkmcnt(1)
	v_mul_f64 v[2:3], v[62:63], v[118:119]
	v_fma_f64 v[160:161], v[60:61], v[116:117], -v[2:3]
	v_mul_f64 v[2:3], v[60:61], v[118:119]
	v_add_f64 v[184:185], v[156:157], -v[160:161]
	v_fma_f64 v[162:163], v[62:63], v[116:117], v[2:3]
	s_waitcnt vmcnt(0)
	v_mul_f64 v[2:3], v[82:83], v[114:115]
	v_fma_f64 v[164:165], v[80:81], v[112:113], -v[2:3]
	v_mul_f64 v[2:3], v[80:81], v[114:115]
	v_add_f64 v[80:81], v[16:17], v[20:21]
	v_fma_f64 v[166:167], v[82:83], v[112:113], v[2:3]
	v_add_co_u32 v3, null, 0x6e, v32
	v_and_b32_e32 v2, 0xff, v3
	v_mul_lo_u16 v32, 0x75, v2
	v_mul_lo_u16 v2, 0x95, v2
	v_lshrrev_b16 v32, 8, v32
	v_lshrrev_b16 v2, 13, v2
	v_sub_nc_u16 v33, v3, v32
	v_mul_lo_u16 v2, v2, 55
	v_lshrrev_b16 v33, 1, v33
	v_sub_nc_u16 v2, v3, v2
	v_and_b32_e32 v33, 0x7f, v33
	v_add_nc_u16 v32, v33, v32
	v_lshrrev_b16 v32, 3, v32
	v_mul_lo_u16 v33, v32, 11
	v_sub_nc_u16 v33, v3, v33
	v_lshlrev_b32_e32 v3, 5, v3
	v_and_b32_e32 v33, 0xff, v33
	v_lshlrev_b32_e32 v34, 6, v33
	s_clause 0x1
	global_load_dwordx4 v[128:131], v34, s[4:5]
	global_load_dwordx4 v[120:123], v34, s[4:5] offset:16
	s_waitcnt vmcnt(1)
	v_mul_f64 v[60:61], v[66:67], v[130:131]
	v_fma_f64 v[168:169], v[64:65], v[128:129], -v[60:61]
	v_mul_f64 v[60:61], v[64:65], v[130:131]
	v_fma_f64 v[170:171], v[66:67], v[128:129], v[60:61]
	s_waitcnt vmcnt(0)
	v_mul_f64 v[60:61], v[126:127], v[122:123]
	v_fma_f64 v[172:173], v[124:125], v[120:121], -v[60:61]
	v_mul_f64 v[60:61], v[124:125], v[122:123]
	v_fma_f64 v[174:175], v[126:127], v[120:121], v[60:61]
	s_clause 0x1
	global_load_dwordx4 v[132:135], v34, s[4:5] offset:32
	global_load_dwordx4 v[124:127], v34, s[4:5] offset:48
	s_waitcnt vmcnt(1) lgkmcnt(0)
	v_mul_f64 v[60:61], v[138:139], v[134:135]
	v_fma_f64 v[176:177], v[136:137], v[132:133], -v[60:61]
	v_mul_f64 v[60:61], v[136:137], v[134:135]
	v_fma_f64 v[178:179], v[138:139], v[132:133], v[60:61]
	ds_read_b128 v[60:63], v6 offset:12320
	s_waitcnt vmcnt(0) lgkmcnt(0)
	v_mul_f64 v[64:65], v[62:63], v[126:127]
	v_fma_f64 v[180:181], v[60:61], v[124:125], -v[64:65]
	v_mul_f64 v[60:61], v[60:61], v[126:127]
	v_fma_f64 v[182:183], v[62:63], v[124:125], v[60:61]
	v_add_f64 v[60:61], v[12:13], -v[16:17]
	v_add_f64 v[62:63], v[24:25], -v[20:21]
	v_add_f64 v[136:137], v[60:61], v[62:63]
	v_add_f64 v[60:61], v[14:15], -v[18:19]
	v_add_f64 v[62:63], v[26:27], -v[22:23]
	v_add_f64 v[138:139], v[60:61], v[62:63]
	ds_read_b128 v[60:63], v6
	ds_read_b128 v[64:67], v6 offset:880
	s_waitcnt lgkmcnt(0)
	s_barrier
	buffer_gl0_inv
	v_fma_f64 v[140:141], v[80:81], -0.5, v[60:61]
	v_add_f64 v[80:81], v[18:19], v[22:23]
	v_fma_f64 v[142:143], v[80:81], -0.5, v[62:63]
	v_fma_f64 v[80:81], v[144:145], s[14:15], v[140:141]
	v_fma_f64 v[140:141], v[144:145], s[12:13], v[140:141]
	;; [unrolled: 1-line block ×10, first 2 shown]
	v_add_f64 v[140:141], v[12:13], v[24:25]
	v_fma_f64 v[82:83], v[138:139], s[16:17], v[82:83]
	v_fma_f64 v[138:139], v[138:139], s[16:17], v[142:143]
	v_add_f64 v[142:143], v[14:15], v[26:27]
	v_fma_f64 v[140:141], v[140:141], -0.5, v[60:61]
	v_add_f64 v[60:61], v[60:61], v[12:13]
	v_add_f64 v[12:13], v[16:17], -v[12:13]
	v_fma_f64 v[142:143], v[142:143], -0.5, v[62:63]
	v_add_f64 v[62:63], v[62:63], v[14:15]
	v_add_f64 v[14:15], v[18:19], -v[14:15]
	v_add_f64 v[16:17], v[60:61], v[16:17]
	v_add_f64 v[60:61], v[62:63], v[18:19]
	;; [unrolled: 1-line block ×3, first 2 shown]
	v_add_f64 v[20:21], v[20:21], -v[24:25]
	v_add_f64 v[18:19], v[60:61], v[22:23]
	v_add_f64 v[60:61], v[16:17], v[24:25]
	v_add_f64 v[16:17], v[22:23], -v[26:27]
	v_fma_f64 v[22:23], v[146:147], s[14:15], v[140:141]
	v_fma_f64 v[24:25], v[150:151], s[14:15], v[142:143]
	v_add_f64 v[12:13], v[12:13], v[20:21]
	v_add_f64 v[62:63], v[18:19], v[26:27]
	v_fma_f64 v[18:19], v[146:147], s[12:13], v[140:141]
	v_fma_f64 v[26:27], v[150:151], s[12:13], v[142:143]
	v_add_f64 v[14:15], v[14:15], v[16:17]
	v_fma_f64 v[20:21], v[148:149], s[6:7], v[24:25]
	v_fma_f64 v[16:17], v[144:145], s[0:1], v[18:19]
	;; [unrolled: 1-line block ×4, first 2 shown]
	v_add_f64 v[26:27], v[28:29], -v[164:165]
	v_fma_f64 v[142:143], v[14:15], s[16:17], v[20:21]
	v_add_f64 v[20:21], v[30:31], -v[166:167]
	v_fma_f64 v[140:141], v[12:13], s[16:17], v[16:17]
	v_fma_f64 v[144:145], v[12:13], s[16:17], v[18:19]
	;; [unrolled: 1-line block ×3, first 2 shown]
	v_add_f64 v[12:13], v[28:29], -v[156:157]
	v_add_f64 v[14:15], v[164:165], -v[160:161]
	;; [unrolled: 1-line block ×3, first 2 shown]
	v_add_f64 v[18:19], v[158:159], v[162:163]
	v_add_f64 v[22:23], v[158:159], -v[162:163]
	v_add_f64 v[12:13], v[12:13], v[14:15]
	v_add_f64 v[14:15], v[30:31], -v[158:159]
	v_fma_f64 v[18:19], v[18:19], -0.5, v[66:67]
	v_add_f64 v[14:15], v[14:15], v[16:17]
	v_add_f64 v[16:17], v[156:157], v[160:161]
	v_fma_f64 v[148:149], v[26:27], s[12:13], v[18:19]
	v_fma_f64 v[18:19], v[26:27], s[14:15], v[18:19]
	v_fma_f64 v[16:17], v[16:17], -0.5, v[64:65]
	v_fma_f64 v[150:151], v[184:185], s[6:7], v[148:149]
	v_fma_f64 v[18:19], v[184:185], s[0:1], v[18:19]
	;; [unrolled: 1-line block ×5, first 2 shown]
	v_add_f64 v[18:19], v[66:67], v[30:31]
	v_fma_f64 v[150:151], v[14:15], s[16:17], v[150:151]
	v_add_f64 v[14:15], v[30:31], v[166:167]
	v_fma_f64 v[24:25], v[22:23], s[0:1], v[24:25]
	v_fma_f64 v[16:17], v[22:23], s[6:7], v[16:17]
	v_add_f64 v[18:19], v[18:19], v[158:159]
	v_fma_f64 v[14:15], v[14:15], -0.5, v[66:67]
	v_fma_f64 v[148:149], v[12:13], s[16:17], v[24:25]
	v_fma_f64 v[152:153], v[12:13], s[16:17], v[16:17]
	v_add_f64 v[16:17], v[64:65], v[28:29]
	v_add_f64 v[12:13], v[28:29], v[164:165]
	;; [unrolled: 1-line block ×3, first 2 shown]
	v_add_f64 v[24:25], v[156:157], -v[28:29]
	v_add_f64 v[28:29], v[158:159], -v[30:31]
	v_add_f64 v[30:31], v[160:161], -v[164:165]
	v_add_f64 v[16:17], v[16:17], v[156:157]
	v_fma_f64 v[12:13], v[12:13], -0.5, v[64:65]
	v_add_f64 v[66:67], v[18:19], v[166:167]
	v_add_f64 v[24:25], v[24:25], v[30:31]
	v_mov_b32_e32 v31, 55
	v_mul_u32_u24_sdwa v4, v4, v31 dst_sel:DWORD dst_unused:UNUSED_PAD src0_sel:WORD_0 src1_sel:DWORD
	v_add_lshl_u32 v43, v4, v11, 4
	v_mul_u32_u24_sdwa v4, v5, v31 dst_sel:DWORD dst_unused:UNUSED_PAD src0_sel:WORD_0 src1_sel:DWORD
	ds_write_b128 v43, v[60:63]
	v_add_f64 v[16:17], v[16:17], v[160:161]
	v_fma_f64 v[18:19], v[22:23], s[12:13], v[12:13]
	v_fma_f64 v[12:13], v[22:23], s[14:15], v[12:13]
	v_fma_f64 v[22:23], v[184:185], s[14:15], v[14:15]
	v_fma_f64 v[14:15], v[184:185], s[12:13], v[14:15]
	v_add_lshl_u32 v5, v4, v7, 4
	v_mul_u32_u24_sdwa v4, v32, v31 dst_sel:DWORD dst_unused:UNUSED_PAD src0_sel:WORD_0 src1_sel:DWORD
	ds_write_b128 v43, v[80:83] offset:176
	ds_write_b128 v43, v[140:143] offset:352
	;; [unrolled: 1-line block ×4, first 2 shown]
	v_add_lshl_u32 v7, v4, v33, 4
	v_mov_b32_e32 v4, 6
	v_lshlrev_b32_sdwa v4, v4, v2 dst_sel:DWORD dst_unused:UNUSED_PAD src0_sel:DWORD src1_sel:BYTE_0
	v_lshlrev_b32_sdwa v2, v10, v2 dst_sel:DWORD dst_unused:UNUSED_PAD src0_sel:DWORD src1_sel:BYTE_0
	v_lshlrev_b32_e32 v10, 5, v35
	v_add_f64 v[64:65], v[16:17], v[164:165]
	v_add_f64 v[16:17], v[162:163], -v[166:167]
	v_fma_f64 v[12:13], v[20:21], s[6:7], v[12:13]
	v_fma_f64 v[18:19], v[20:21], s[0:1], v[18:19]
	;; [unrolled: 1-line block ×4, first 2 shown]
	v_add_f64 v[16:17], v[28:29], v[16:17]
	v_fma_f64 v[160:161], v[24:25], s[16:17], v[12:13]
	v_add_f64 v[11:12], v[168:169], -v[172:173]
	v_fma_f64 v[156:157], v[24:25], s[16:17], v[18:19]
	v_add_f64 v[25:26], v[168:169], -v[180:181]
	v_add_f64 v[27:28], v[172:173], -v[176:177]
	v_fma_f64 v[162:163], v[16:17], s[16:17], v[14:15]
	v_add_f64 v[13:14], v[180:181], -v[176:177]
	v_fma_f64 v[158:159], v[16:17], s[16:17], v[20:21]
	v_add_f64 v[15:16], v[182:183], -v[178:179]
	v_add_f64 v[17:18], v[174:175], v[178:179]
	v_add_f64 v[19:20], v[170:171], -v[182:183]
	v_add_f64 v[21:22], v[174:175], -v[178:179]
	ds_write_b128 v5, v[64:67]
	ds_write_b128 v5, v[148:151] offset:176
	ds_write_b128 v5, v[156:159] offset:352
	;; [unrolled: 1-line block ×4, first 2 shown]
	v_add_f64 v[11:12], v[11:12], v[13:14]
	v_add_f64 v[13:14], v[170:171], -v[174:175]
	v_fma_f64 v[17:18], v[17:18], -0.5, v[86:87]
	v_add_f64 v[13:14], v[13:14], v[15:16]
	v_add_f64 v[15:16], v[172:173], v[176:177]
	v_fma_f64 v[29:30], v[25:26], s[12:13], v[17:18]
	v_fma_f64 v[17:18], v[25:26], s[14:15], v[17:18]
	v_fma_f64 v[15:16], v[15:16], -0.5, v[84:85]
	v_fma_f64 v[29:30], v[27:28], s[6:7], v[29:30]
	v_fma_f64 v[17:18], v[27:28], s[0:1], v[17:18]
	;; [unrolled: 1-line block ×5, first 2 shown]
	v_add_f64 v[17:18], v[86:87], v[170:171]
	v_fma_f64 v[62:63], v[13:14], s[16:17], v[29:30]
	v_add_f64 v[13:14], v[170:171], v[182:183]
	v_add_f64 v[29:30], v[174:175], -v[170:171]
	v_fma_f64 v[23:24], v[21:22], s[0:1], v[23:24]
	v_fma_f64 v[15:16], v[21:22], s[6:7], v[15:16]
	v_add_f64 v[17:18], v[17:18], v[174:175]
	v_fma_f64 v[13:14], v[13:14], -0.5, v[86:87]
	v_fma_f64 v[60:61], v[11:12], s[16:17], v[23:24]
	v_fma_f64 v[164:165], v[11:12], s[16:17], v[15:16]
	v_add_f64 v[15:16], v[84:85], v[168:169]
	v_add_f64 v[11:12], v[168:169], v[180:181]
	;; [unrolled: 1-line block ×3, first 2 shown]
	v_add_f64 v[23:24], v[172:173], -v[168:169]
	v_add_f64 v[168:169], v[176:177], -v[180:181]
	v_add_f64 v[15:16], v[15:16], v[172:173]
	v_fma_f64 v[11:12], v[11:12], -0.5, v[84:85]
	v_add_f64 v[86:87], v[17:18], v[182:183]
	v_add_f64 v[23:24], v[23:24], v[168:169]
	;; [unrolled: 1-line block ×3, first 2 shown]
	v_fma_f64 v[17:18], v[21:22], s[12:13], v[11:12]
	v_fma_f64 v[11:12], v[21:22], s[14:15], v[11:12]
	;; [unrolled: 1-line block ×4, first 2 shown]
	v_add_f64 v[84:85], v[15:16], v[180:181]
	v_add_f64 v[15:16], v[178:179], -v[182:183]
	v_fma_f64 v[17:18], v[19:20], s[0:1], v[17:18]
	v_fma_f64 v[11:12], v[19:20], s[6:7], v[11:12]
	;; [unrolled: 1-line block ×4, first 2 shown]
	ds_write_b128 v7, v[84:87]
	v_add_f64 v[15:16], v[29:30], v[15:16]
	v_fma_f64 v[168:169], v[23:24], s[16:17], v[17:18]
	v_fma_f64 v[172:173], v[23:24], s[16:17], v[11:12]
	v_lshlrev_b32_e32 v11, 6, v35
	v_fma_f64 v[170:171], v[15:16], s[16:17], v[19:20]
	v_fma_f64 v[174:175], v[15:16], s[16:17], v[13:14]
	ds_write_b128 v7, v[60:63] offset:176
	ds_write_b128 v7, v[168:171] offset:352
	;; [unrolled: 1-line block ×4, first 2 shown]
	s_waitcnt lgkmcnt(0)
	s_barrier
	buffer_gl0_inv
	s_clause 0x1
	global_load_dwordx4 v[64:67], v11, s[4:5] offset:704
	global_load_dwordx4 v[60:63], v11, s[4:5] offset:720
	ds_read_b128 v[80:83], v6 offset:2640
	ds_read_b128 v[84:87], v6 offset:1760
	s_waitcnt vmcnt(1) lgkmcnt(1)
	v_mul_f64 v[12:13], v[82:83], v[66:67]
	v_mul_f64 v[14:15], v[80:81], v[66:67]
	v_fma_f64 v[12:13], v[80:81], v[64:65], -v[12:13]
	v_fma_f64 v[14:15], v[82:83], v[64:65], v[14:15]
	ds_read_b128 v[80:83], v6 offset:5280
	ds_read_b128 v[144:147], v6 offset:6160
	s_clause 0x1
	global_load_dwordx4 v[140:143], v11, s[4:5] offset:736
	global_load_dwordx4 v[136:139], v11, s[4:5] offset:752
	s_waitcnt vmcnt(2) lgkmcnt(1)
	v_mul_f64 v[16:17], v[82:83], v[62:63]
	v_mul_f64 v[18:19], v[80:81], v[62:63]
	v_fma_f64 v[16:17], v[80:81], v[60:61], -v[16:17]
	v_fma_f64 v[18:19], v[82:83], v[60:61], v[18:19]
	ds_read_b128 v[80:83], v6 offset:7920
	ds_read_b128 v[148:151], v6 offset:7040
	s_waitcnt vmcnt(1) lgkmcnt(1)
	v_mul_f64 v[20:21], v[82:83], v[142:143]
	v_mul_f64 v[22:23], v[80:81], v[142:143]
	v_fma_f64 v[20:21], v[80:81], v[140:141], -v[20:21]
	v_fma_f64 v[22:23], v[82:83], v[140:141], v[22:23]
	ds_read_b128 v[80:83], v6 offset:10560
	ds_read_b128 v[152:155], v6 offset:11440
	s_waitcnt vmcnt(0) lgkmcnt(1)
	v_mul_f64 v[24:25], v[82:83], v[138:139]
	v_mul_f64 v[26:27], v[80:81], v[138:139]
	v_add_f64 v[164:165], v[16:17], v[20:21]
	v_add_f64 v[178:179], v[18:19], -v[22:23]
	v_add_f64 v[182:183], v[16:17], -v[20:21]
	v_fma_f64 v[24:25], v[80:81], v[136:137], -v[24:25]
	v_fma_f64 v[26:27], v[82:83], v[136:137], v[26:27]
	ds_read_b128 v[80:83], v6 offset:3520
	ds_read_b128 v[156:159], v6 offset:4400
	s_waitcnt lgkmcnt(1)
	v_mul_f64 v[28:29], v[82:83], v[66:67]
	v_mul_f64 v[30:31], v[80:81], v[66:67]
	v_add_f64 v[176:177], v[14:15], -v[26:27]
	v_add_f64 v[180:181], v[12:13], -v[24:25]
	v_fma_f64 v[28:29], v[80:81], v[64:65], -v[28:29]
	v_mul_f64 v[80:81], v[146:147], v[62:63]
	v_fma_f64 v[30:31], v[82:83], v[64:65], v[30:31]
	v_fma_f64 v[188:189], v[144:145], v[60:61], -v[80:81]
	v_mul_f64 v[80:81], v[144:145], v[62:63]
	v_fma_f64 v[190:191], v[146:147], v[60:61], v[80:81]
	ds_read_b128 v[80:83], v6 offset:8800
	ds_read_b128 v[160:163], v6 offset:9680
	s_waitcnt lgkmcnt(1)
	v_mul_f64 v[144:145], v[82:83], v[142:143]
	v_fma_f64 v[192:193], v[80:81], v[140:141], -v[144:145]
	v_mul_f64 v[80:81], v[80:81], v[142:143]
	v_add_f64 v[200:201], v[188:189], -v[192:193]
	v_fma_f64 v[194:195], v[82:83], v[140:141], v[80:81]
	v_mul_f64 v[80:81], v[154:155], v[138:139]
	v_fma_f64 v[196:197], v[152:153], v[136:137], -v[80:81]
	v_mul_f64 v[80:81], v[152:153], v[138:139]
	v_fma_f64 v[198:199], v[154:155], v[136:137], v[80:81]
	s_clause 0x1
	global_load_dwordx4 v[152:155], v4, s[4:5] offset:704
	global_load_dwordx4 v[144:147], v4, s[4:5] offset:720
	s_waitcnt vmcnt(1)
	v_mul_f64 v[80:81], v[158:159], v[154:155]
	v_fma_f64 v[204:205], v[156:157], v[152:153], -v[80:81]
	v_mul_f64 v[80:81], v[156:157], v[154:155]
	v_fma_f64 v[206:207], v[158:159], v[152:153], v[80:81]
	s_waitcnt vmcnt(0)
	v_mul_f64 v[80:81], v[150:151], v[146:147]
	v_fma_f64 v[208:209], v[148:149], v[144:145], -v[80:81]
	v_mul_f64 v[80:81], v[148:149], v[146:147]
	v_fma_f64 v[210:211], v[150:151], v[144:145], v[80:81]
	s_clause 0x1
	global_load_dwordx4 v[156:159], v4, s[4:5] offset:736
	global_load_dwordx4 v[148:151], v4, s[4:5] offset:752
	s_waitcnt vmcnt(1) lgkmcnt(0)
	v_mul_f64 v[80:81], v[162:163], v[158:159]
	v_fma_f64 v[212:213], v[160:161], v[156:157], -v[80:81]
	v_mul_f64 v[80:81], v[160:161], v[158:159]
	v_fma_f64 v[214:215], v[162:163], v[156:157], v[80:81]
	ds_read_b128 v[80:83], v6 offset:12320
	s_waitcnt vmcnt(0) lgkmcnt(0)
	v_mul_f64 v[160:161], v[82:83], v[150:151]
	v_fma_f64 v[216:217], v[80:81], v[148:149], -v[160:161]
	v_mul_f64 v[80:81], v[80:81], v[150:151]
	v_fma_f64 v[218:219], v[82:83], v[148:149], v[80:81]
	v_add_f64 v[80:81], v[12:13], -v[16:17]
	v_add_f64 v[82:83], v[24:25], -v[20:21]
	v_add_f64 v[168:169], v[80:81], v[82:83]
	v_add_f64 v[80:81], v[14:15], -v[18:19]
	v_add_f64 v[82:83], v[26:27], -v[22:23]
	v_add_f64 v[170:171], v[80:81], v[82:83]
	ds_read_b128 v[80:83], v6
	ds_read_b128 v[160:163], v6 offset:880
	s_waitcnt lgkmcnt(0)
	s_barrier
	buffer_gl0_inv
	v_fma_f64 v[172:173], v[164:165], -0.5, v[80:81]
	v_add_f64 v[164:165], v[18:19], v[22:23]
	v_fma_f64 v[174:175], v[164:165], -0.5, v[82:83]
	v_fma_f64 v[164:165], v[176:177], s[14:15], v[172:173]
	v_fma_f64 v[172:173], v[176:177], s[12:13], v[172:173]
	;; [unrolled: 1-line block ×10, first 2 shown]
	v_add_f64 v[172:173], v[12:13], v[24:25]
	v_fma_f64 v[166:167], v[170:171], s[16:17], v[166:167]
	v_fma_f64 v[170:171], v[170:171], s[16:17], v[174:175]
	v_add_f64 v[174:175], v[14:15], v[26:27]
	v_fma_f64 v[172:173], v[172:173], -0.5, v[80:81]
	v_add_f64 v[80:81], v[80:81], v[12:13]
	v_add_f64 v[12:13], v[16:17], -v[12:13]
	v_fma_f64 v[174:175], v[174:175], -0.5, v[82:83]
	v_add_f64 v[82:83], v[82:83], v[14:15]
	v_add_f64 v[14:15], v[18:19], -v[14:15]
	v_add_f64 v[16:17], v[80:81], v[16:17]
	v_add_f64 v[80:81], v[82:83], v[18:19]
	v_add_f64 v[16:17], v[16:17], v[20:21]
	v_add_f64 v[20:21], v[20:21], -v[24:25]
	v_add_f64 v[18:19], v[80:81], v[22:23]
	v_add_f64 v[80:81], v[16:17], v[24:25]
	v_add_f64 v[16:17], v[22:23], -v[26:27]
	v_fma_f64 v[22:23], v[178:179], s[14:15], v[172:173]
	v_fma_f64 v[24:25], v[182:183], s[14:15], v[174:175]
	v_add_f64 v[12:13], v[12:13], v[20:21]
	v_add_f64 v[82:83], v[18:19], v[26:27]
	v_fma_f64 v[18:19], v[178:179], s[12:13], v[172:173]
	v_fma_f64 v[26:27], v[182:183], s[12:13], v[174:175]
	v_add_f64 v[14:15], v[14:15], v[16:17]
	v_fma_f64 v[20:21], v[180:181], s[6:7], v[24:25]
	v_fma_f64 v[16:17], v[176:177], s[0:1], v[18:19]
	;; [unrolled: 1-line block ×4, first 2 shown]
	v_add_f64 v[26:27], v[28:29], -v[196:197]
	v_fma_f64 v[174:175], v[14:15], s[16:17], v[20:21]
	v_add_f64 v[20:21], v[30:31], -v[198:199]
	v_fma_f64 v[172:173], v[12:13], s[16:17], v[16:17]
	v_fma_f64 v[176:177], v[12:13], s[16:17], v[18:19]
	;; [unrolled: 1-line block ×3, first 2 shown]
	v_add_f64 v[12:13], v[28:29], -v[188:189]
	v_add_f64 v[14:15], v[196:197], -v[192:193]
	;; [unrolled: 1-line block ×3, first 2 shown]
	v_add_f64 v[18:19], v[190:191], v[194:195]
	v_add_f64 v[22:23], v[190:191], -v[194:195]
	v_add_f64 v[12:13], v[12:13], v[14:15]
	v_add_f64 v[14:15], v[30:31], -v[190:191]
	v_fma_f64 v[18:19], v[18:19], -0.5, v[162:163]
	v_add_f64 v[14:15], v[14:15], v[16:17]
	v_add_f64 v[16:17], v[188:189], v[192:193]
	v_fma_f64 v[180:181], v[26:27], s[12:13], v[18:19]
	v_fma_f64 v[18:19], v[26:27], s[14:15], v[18:19]
	v_fma_f64 v[16:17], v[16:17], -0.5, v[160:161]
	v_fma_f64 v[182:183], v[200:201], s[6:7], v[180:181]
	v_fma_f64 v[18:19], v[200:201], s[0:1], v[18:19]
	;; [unrolled: 1-line block ×5, first 2 shown]
	v_add_f64 v[18:19], v[162:163], v[30:31]
	v_fma_f64 v[182:183], v[14:15], s[16:17], v[182:183]
	v_add_f64 v[14:15], v[30:31], v[198:199]
	v_fma_f64 v[24:25], v[22:23], s[0:1], v[24:25]
	v_fma_f64 v[16:17], v[22:23], s[6:7], v[16:17]
	v_add_f64 v[18:19], v[18:19], v[190:191]
	v_fma_f64 v[14:15], v[14:15], -0.5, v[162:163]
	v_fma_f64 v[180:181], v[12:13], s[16:17], v[24:25]
	v_fma_f64 v[184:185], v[12:13], s[16:17], v[16:17]
	v_add_f64 v[16:17], v[160:161], v[28:29]
	v_add_f64 v[12:13], v[28:29], v[196:197]
	;; [unrolled: 1-line block ×3, first 2 shown]
	v_add_f64 v[24:25], v[188:189], -v[28:29]
	v_add_f64 v[28:29], v[190:191], -v[30:31]
	;; [unrolled: 1-line block ×3, first 2 shown]
	v_add_f64 v[16:17], v[16:17], v[188:189]
	v_fma_f64 v[12:13], v[12:13], -0.5, v[160:161]
	v_add_f64 v[162:163], v[18:19], v[198:199]
	v_add_f64 v[24:25], v[24:25], v[30:31]
	;; [unrolled: 1-line block ×3, first 2 shown]
	v_fma_f64 v[18:19], v[22:23], s[12:13], v[12:13]
	v_fma_f64 v[12:13], v[22:23], s[14:15], v[12:13]
	;; [unrolled: 1-line block ×4, first 2 shown]
	v_add_f64 v[160:161], v[16:17], v[196:197]
	v_add_f64 v[16:17], v[194:195], -v[198:199]
	v_fma_f64 v[12:13], v[20:21], s[6:7], v[12:13]
	v_fma_f64 v[18:19], v[20:21], s[0:1], v[18:19]
	;; [unrolled: 1-line block ×4, first 2 shown]
	v_add_f64 v[26:27], v[204:205], -v[216:217]
	v_add_f64 v[22:23], v[210:211], -v[214:215]
	v_add_f64 v[16:17], v[28:29], v[16:17]
	v_fma_f64 v[192:193], v[24:25], s[16:17], v[12:13]
	v_add_f64 v[12:13], v[204:205], -v[208:209]
	v_fma_f64 v[188:189], v[24:25], s[16:17], v[18:19]
	v_add_f64 v[18:19], v[210:211], v[214:215]
	v_add_f64 v[28:29], v[208:209], -v[212:213]
	v_fma_f64 v[194:195], v[16:17], s[16:17], v[14:15]
	v_add_f64 v[14:15], v[216:217], -v[212:213]
	v_fma_f64 v[190:191], v[16:17], s[16:17], v[20:21]
	v_add_f64 v[16:17], v[218:219], -v[214:215]
	v_fma_f64 v[18:19], v[18:19], -0.5, v[86:87]
	v_add_f64 v[20:21], v[206:207], -v[218:219]
	ds_write_b128 v6, v[80:83]
	ds_write_b128 v6, v[160:163] offset:4400
	ds_write_b128 v6, v[164:167] offset:880
	;; [unrolled: 1-line block ×9, first 2 shown]
	v_add_f64 v[12:13], v[12:13], v[14:15]
	v_add_f64 v[14:15], v[206:207], -v[210:211]
	v_fma_f64 v[30:31], v[26:27], s[12:13], v[18:19]
	v_fma_f64 v[18:19], v[26:27], s[14:15], v[18:19]
	v_add_f64 v[14:15], v[14:15], v[16:17]
	v_add_f64 v[16:17], v[208:209], v[212:213]
	v_fma_f64 v[30:31], v[28:29], s[6:7], v[30:31]
	v_fma_f64 v[18:19], v[28:29], s[0:1], v[18:19]
	v_fma_f64 v[16:17], v[16:17], -0.5, v[84:85]
	v_fma_f64 v[198:199], v[14:15], s[16:17], v[30:31]
	v_fma_f64 v[202:203], v[14:15], s[16:17], v[18:19]
	v_add_f64 v[18:19], v[86:87], v[206:207]
	v_add_f64 v[14:15], v[206:207], v[218:219]
	v_add_f64 v[30:31], v[210:211], -v[206:207]
	v_fma_f64 v[24:25], v[20:21], s[14:15], v[16:17]
	v_fma_f64 v[16:17], v[20:21], s[12:13], v[16:17]
	v_add_f64 v[18:19], v[18:19], v[210:211]
	v_fma_f64 v[14:15], v[14:15], -0.5, v[86:87]
	v_fma_f64 v[24:25], v[22:23], s[0:1], v[24:25]
	v_fma_f64 v[16:17], v[22:23], s[6:7], v[16:17]
	v_add_f64 v[18:19], v[18:19], v[214:215]
	v_fma_f64 v[196:197], v[12:13], s[16:17], v[24:25]
	v_fma_f64 v[200:201], v[12:13], s[16:17], v[16:17]
	v_add_f64 v[16:17], v[84:85], v[204:205]
	v_add_f64 v[12:13], v[204:205], v[216:217]
	v_add_f64 v[24:25], v[208:209], -v[204:205]
	v_add_f64 v[204:205], v[212:213], -v[216:217]
	v_add_f64 v[86:87], v[18:19], v[218:219]
	v_add_f64 v[16:17], v[16:17], v[208:209]
	v_fma_f64 v[12:13], v[12:13], -0.5, v[84:85]
	v_add_f64 v[24:25], v[24:25], v[204:205]
	v_add_f64 v[16:17], v[16:17], v[212:213]
	v_fma_f64 v[18:19], v[22:23], s[12:13], v[12:13]
	v_fma_f64 v[12:13], v[22:23], s[14:15], v[12:13]
	v_fma_f64 v[22:23], v[28:29], s[14:15], v[14:15]
	v_fma_f64 v[14:15], v[28:29], s[12:13], v[14:15]
	v_add_f64 v[84:85], v[16:17], v[216:217]
	v_add_f64 v[16:17], v[214:215], -v[218:219]
	v_fma_f64 v[18:19], v[20:21], s[0:1], v[18:19]
	v_fma_f64 v[12:13], v[20:21], s[6:7], v[12:13]
	;; [unrolled: 1-line block ×4, first 2 shown]
	v_add_co_u32 v4, s0, s4, v11
	v_add_co_ci_u32_e64 v11, null, s5, 0, s0
	v_sub_co_u32 v4, s0, v4, v10
	v_add_f64 v[16:17], v[30:31], v[16:17]
	v_fma_f64 v[204:205], v[24:25], s[16:17], v[18:19]
	v_fma_f64 v[208:209], v[24:25], s[16:17], v[12:13]
	;; [unrolled: 1-line block ×4, first 2 shown]
	v_subrev_co_ci_u32_e64 v14, s0, 0, v11, s0
	v_add_co_u32 v11, s0, 0x1000, v4
	ds_write_b128 v2, v[84:87] offset:8800
	ds_write_b128 v2, v[196:199] offset:9680
	;; [unrolled: 1-line block ×5, first 2 shown]
	v_add_co_ci_u32_e64 v12, s0, 0, v14, s0
	v_add_co_u32 v13, s0, 0x1080, v4
	v_add_co_ci_u32_e64 v14, s0, 0, v14, s0
	buffer_store_dword v35, off, s[40:43], 0 offset:64 ; 4-byte Folded Spill
	s_waitcnt lgkmcnt(0)
	s_waitcnt_vscnt null, 0x0
	s_barrier
	buffer_gl0_inv
	s_clause 0x1
	global_load_dwordx4 v[84:87], v[11:12], off offset:128
	global_load_dwordx4 v[80:83], v[13:14], off offset:16
	ds_read_b128 v[160:163], v6 offset:4400
	ds_read_b128 v[196:199], v6 offset:3520
	v_lshlrev_b32_e32 v4, 5, v9
	v_add_co_u32 v4, s0, s4, v4
	v_add_co_ci_u32_e64 v9, null, s5, 0, s0
	v_add_co_u32 v19, s0, 0x1000, v4
	v_add_co_ci_u32_e64 v20, s0, 0, v9, s0
	v_add_co_u32 v21, s0, 0x1080, v4
	v_add_co_ci_u32_e64 v22, s0, 0, v9, s0
	v_add_co_u32 v3, s0, s4, v3
	v_add_co_ci_u32_e64 v4, null, s5, 0, s0
	v_add_co_u32 v27, s0, 0x1000, v3
	v_add_co_ci_u32_e64 v28, s0, 0, v4, s0
	v_add_co_u32 v29, s0, 0x1080, v3
	v_add_co_ci_u32_e64 v30, s0, 0, v4, s0
	v_add_nc_u32_e32 v3, 0x14a0, v10
	v_add_co_u32 v3, s0, s4, v3
	v_add_co_ci_u32_e64 v4, null, s5, 0, s0
	s_waitcnt vmcnt(1) lgkmcnt(1)
	v_mul_f64 v[11:12], v[162:163], v[86:87]
	v_mul_f64 v[13:14], v[160:161], v[86:87]
	v_fma_f64 v[11:12], v[160:161], v[84:85], -v[11:12]
	v_fma_f64 v[13:14], v[162:163], v[84:85], v[13:14]
	ds_read_b128 v[160:163], v6 offset:8800
	ds_read_b128 v[168:171], v6 offset:9680
	s_waitcnt vmcnt(0) lgkmcnt(1)
	v_mul_f64 v[15:16], v[162:163], v[82:83]
	v_mul_f64 v[17:18], v[160:161], v[82:83]
	v_fma_f64 v[15:16], v[160:161], v[80:81], -v[15:16]
	v_fma_f64 v[17:18], v[162:163], v[80:81], v[17:18]
	s_clause 0x1
	global_load_dwordx4 v[164:167], v[19:20], off offset:128
	global_load_dwordx4 v[160:163], v[21:22], off offset:16
	ds_read_b128 v[172:175], v6 offset:5280
	ds_read_b128 v[176:179], v6 offset:6160
	v_add_f64 v[33:34], v[11:12], v[15:16]
	v_add_f64 v[208:209], v[13:14], v[17:18]
	s_waitcnt vmcnt(1) lgkmcnt(1)
	v_mul_f64 v[19:20], v[174:175], v[166:167]
	v_mul_f64 v[21:22], v[172:173], v[166:167]
	s_waitcnt vmcnt(0)
	v_mul_f64 v[23:24], v[170:171], v[162:163]
	v_mul_f64 v[25:26], v[168:169], v[162:163]
	v_fma_f64 v[19:20], v[172:173], v[164:165], -v[19:20]
	v_fma_f64 v[21:22], v[174:175], v[164:165], v[21:22]
	v_fma_f64 v[23:24], v[168:169], v[160:161], -v[23:24]
	v_fma_f64 v[25:26], v[170:171], v[160:161], v[25:26]
	s_clause 0x1
	global_load_dwordx4 v[172:175], v[27:28], off offset:128
	global_load_dwordx4 v[168:171], v[29:30], off offset:16
	s_waitcnt vmcnt(1) lgkmcnt(0)
	v_mul_f64 v[27:28], v[178:179], v[174:175]
	v_mul_f64 v[29:30], v[176:177], v[174:175]
	v_fma_f64 v[27:28], v[176:177], v[172:173], -v[27:28]
	v_fma_f64 v[29:30], v[178:179], v[172:173], v[29:30]
	ds_read_b128 v[176:179], v6 offset:10560
	ds_read_b128 v[184:187], v6 offset:11440
	s_waitcnt vmcnt(0) lgkmcnt(1)
	v_mul_f64 v[180:181], v[178:179], v[170:171]
	v_fma_f64 v[204:205], v[176:177], v[168:169], -v[180:181]
	v_mul_f64 v[176:177], v[176:177], v[170:171]
	v_fma_f64 v[206:207], v[178:179], v[168:169], v[176:177]
	v_add_co_u32 v176, s0, 0x1000, v3
	v_add_co_ci_u32_e64 v177, s0, 0, v4, s0
	v_add_co_u32 v178, s0, 0x1080, v3
	v_add_co_ci_u32_e64 v179, s0, 0, v4, s0
	s_clause 0x1
	global_load_dwordx4 v[180:183], v[176:177], off offset:128
	global_load_dwordx4 v[176:179], v[178:179], off offset:16
	ds_read_b128 v[188:191], v6 offset:7040
	ds_read_b128 v[192:195], v6 offset:7920
	v_add_nc_u32_e32 v3, 0x1b80, v10
	v_add_co_u32 v3, s0, s4, v3
	v_add_co_ci_u32_e64 v4, null, s5, 0, s0
	s_mov_b32 s5, 0xbfebb67a
	v_add_co_u32 v9, s0, 0x1000, v3
	v_add_co_ci_u32_e64 v10, s0, 0, v4, s0
	s_waitcnt vmcnt(1) lgkmcnt(1)
	v_mul_f64 v[200:201], v[190:191], v[182:183]
	v_fma_f64 v[248:249], v[188:189], v[180:181], -v[200:201]
	v_mul_f64 v[188:189], v[188:189], v[182:183]
	v_fma_f64 v[244:245], v[190:191], v[180:181], v[188:189]
	s_waitcnt vmcnt(0)
	v_mul_f64 v[188:189], v[186:187], v[178:179]
	v_fma_f64 v[250:251], v[184:185], v[176:177], -v[188:189]
	v_mul_f64 v[184:185], v[184:185], v[178:179]
	v_fma_f64 v[246:247], v[186:187], v[176:177], v[184:185]
	v_add_co_u32 v184, s0, 0x1080, v3
	v_add_co_ci_u32_e64 v185, s0, 0, v4, s0
	s_clause 0x1
	global_load_dwordx4 v[188:191], v[9:10], off offset:128
	global_load_dwordx4 v[184:187], v[184:185], off offset:16
	s_mov_b32 s0, 0xe8584caa
	s_mov_b32 s1, 0x3febb67a
	;; [unrolled: 1-line block ×3, first 2 shown]
	s_waitcnt vmcnt(1) lgkmcnt(0)
	v_mul_f64 v[9:10], v[194:195], v[190:191]
	v_fma_f64 v[9:10], v[192:193], v[188:189], -v[9:10]
	v_mul_f64 v[192:193], v[192:193], v[190:191]
	v_fma_f64 v[252:253], v[194:195], v[188:189], v[192:193]
	ds_read_b128 v[192:195], v6 offset:12320
	s_waitcnt vmcnt(0) lgkmcnt(0)
	v_mul_f64 v[200:201], v[194:195], v[186:187]
	v_fma_f64 v[254:255], v[192:193], v[184:185], -v[200:201]
	v_mul_f64 v[192:193], v[192:193], v[186:187]
	v_fma_f64 v[31:32], v[194:195], v[184:185], v[192:193]
	ds_read_b128 v[192:195], v6
	ds_read_b128 v[200:203], v6 offset:880
	s_waitcnt lgkmcnt(1)
	v_fma_f64 v[33:34], v[33:34], -0.5, v[192:193]
	v_fma_f64 v[218:219], v[208:209], -0.5, v[194:195]
	v_add_f64 v[194:195], v[194:195], v[13:14]
	v_add_f64 v[192:193], v[192:193], v[11:12]
	v_add_f64 v[13:14], v[13:14], -v[17:18]
	v_add_f64 v[11:12], v[11:12], -v[15:16]
	v_add_f64 v[210:211], v[194:195], v[17:18]
	v_add_f64 v[208:209], v[192:193], v[15:16]
	v_fma_f64 v[212:213], v[13:14], s[0:1], v[33:34]
	v_fma_f64 v[216:217], v[13:14], s[4:5], v[33:34]
	;; [unrolled: 1-line block ×4, first 2 shown]
	v_add_f64 v[11:12], v[19:20], v[23:24]
	v_add_f64 v[13:14], v[21:22], v[25:26]
	s_waitcnt lgkmcnt(0)
	v_add_f64 v[15:16], v[202:203], v[21:22]
	v_add_f64 v[21:22], v[21:22], -v[25:26]
	v_add_f64 v[17:18], v[200:201], v[19:20]
	v_fma_f64 v[11:12], v[11:12], -0.5, v[200:201]
	v_fma_f64 v[13:14], v[13:14], -0.5, v[202:203]
	v_add_f64 v[222:223], v[15:16], v[25:26]
	v_add_f64 v[15:16], v[19:20], -v[23:24]
	ds_read_b128 v[192:195], v6 offset:1760
	ds_read_b128 v[200:203], v6 offset:2640
	v_add_f64 v[19:20], v[29:30], -v[206:207]
	v_add_f64 v[220:221], v[17:18], v[23:24]
	v_fma_f64 v[224:225], v[21:22], s[0:1], v[11:12]
	v_fma_f64 v[228:229], v[21:22], s[4:5], v[11:12]
	v_add_f64 v[11:12], v[27:28], v[204:205]
	v_fma_f64 v[226:227], v[15:16], s[4:5], v[13:14]
	v_fma_f64 v[230:231], v[15:16], s[0:1], v[13:14]
	v_add_f64 v[13:14], v[29:30], v[206:207]
	s_waitcnt lgkmcnt(1)
	v_add_f64 v[15:16], v[194:195], v[29:30]
	v_add_f64 v[17:18], v[192:193], v[27:28]
	v_fma_f64 v[11:12], v[11:12], -0.5, v[192:193]
	v_fma_f64 v[13:14], v[13:14], -0.5, v[194:195]
	v_add_f64 v[234:235], v[15:16], v[206:207]
	v_add_f64 v[15:16], v[27:28], -v[204:205]
	v_add_f64 v[232:233], v[17:18], v[204:205]
	s_waitcnt lgkmcnt(0)
	v_add_f64 v[17:18], v[200:201], v[248:249]
	v_fma_f64 v[236:237], v[19:20], s[0:1], v[11:12]
	v_fma_f64 v[240:241], v[19:20], s[4:5], v[11:12]
	v_add_f64 v[11:12], v[248:249], v[250:251]
	v_add_f64 v[19:20], v[244:245], -v[246:247]
	v_fma_f64 v[238:239], v[15:16], s[4:5], v[13:14]
	v_fma_f64 v[242:243], v[15:16], s[0:1], v[13:14]
	v_add_f64 v[13:14], v[244:245], v[246:247]
	v_add_f64 v[15:16], v[202:203], v[244:245]
	;; [unrolled: 1-line block ×4, first 2 shown]
	v_fma_f64 v[11:12], v[11:12], -0.5, v[200:201]
	v_fma_f64 v[13:14], v[13:14], -0.5, v[202:203]
	v_add_f64 v[246:247], v[15:16], v[246:247]
	v_add_f64 v[15:16], v[248:249], -v[250:251]
	v_add_f64 v[200:201], v[17:18], v[254:255]
	v_fma_f64 v[248:249], v[19:20], s[0:1], v[11:12]
	v_fma_f64 v[192:193], v[19:20], s[4:5], v[11:12]
	v_add_f64 v[11:12], v[9:10], v[254:255]
	v_add_f64 v[19:20], v[252:253], -v[31:32]
	v_add_f64 v[9:10], v[9:10], -v[254:255]
	v_fma_f64 v[250:251], v[15:16], s[4:5], v[13:14]
	v_fma_f64 v[194:195], v[15:16], s[0:1], v[13:14]
	v_add_f64 v[13:14], v[252:253], v[31:32]
	v_add_f64 v[15:16], v[198:199], v[252:253]
	ds_write_b128 v6, v[208:211]
	ds_write_b128 v6, v[220:223] offset:880
	ds_write_b128 v6, v[232:235] offset:1760
	;; [unrolled: 1-line block ×10, first 2 shown]
	v_fma_f64 v[11:12], v[11:12], -0.5, v[196:197]
	v_fma_f64 v[13:14], v[13:14], -0.5, v[198:199]
	v_add_f64 v[202:203], v[15:16], v[31:32]
	v_fma_f64 v[196:197], v[19:20], s[0:1], v[11:12]
	v_fma_f64 v[204:205], v[19:20], s[4:5], v[11:12]
	;; [unrolled: 1-line block ×4, first 2 shown]
	v_add_co_u32 v3, s0, 0x3000, v0
	v_add_co_ci_u32_e64 v4, s0, 0, v1, s0
	ds_write_b128 v6, v[200:203] offset:3520
	ds_write_b128 v6, v[192:195] offset:11440
	;; [unrolled: 1-line block ×4, first 2 shown]
	s_waitcnt lgkmcnt(0)
	s_barrier
	buffer_gl0_inv
	buffer_store_dword v3, off, s[40:43], 0 offset:248 ; 4-byte Folded Spill
	buffer_store_dword v4, off, s[40:43], 0 offset:252 ; 4-byte Folded Spill
	global_load_dwordx4 v[210:213], v[3:4], off offset:912
	ds_read_b128 v[214:217], v6
	ds_read_b128 v[218:221], v6 offset:1200
	s_waitcnt vmcnt(0) lgkmcnt(1)
	v_mul_f64 v[9:10], v[216:217], v[212:213]
	v_mul_f64 v[11:12], v[214:215], v[212:213]
	v_fma_f64 v[208:209], v[214:215], v[210:211], -v[9:10]
	v_add_co_u32 v9, s0, 0x3800, v0
	v_add_co_ci_u32_e64 v10, s0, 0, v1, s0
	v_add_co_u32 v212, s0, 0x3390, v0
	v_add_co_ci_u32_e64 v213, s0, 0, v1, s0
	v_fma_f64 v[210:211], v[216:217], v[210:211], v[11:12]
	s_clause 0x1
	global_load_dwordx4 v[214:217], v[9:10], off offset:1264
	global_load_dwordx4 v[222:225], v[212:213], off offset:1200
	s_waitcnt vmcnt(0) lgkmcnt(0)
	v_mul_f64 v[9:10], v[220:221], v[224:225]
	v_mul_f64 v[11:12], v[218:219], v[224:225]
	v_fma_f64 v[218:219], v[218:219], v[222:223], -v[9:10]
	v_fma_f64 v[220:221], v[220:221], v[222:223], v[11:12]
	ds_read_b128 v[222:225], v6 offset:2400
	ds_read_b128 v[226:229], v6 offset:3600
	s_waitcnt lgkmcnt(1)
	v_mul_f64 v[9:10], v[224:225], v[216:217]
	v_mul_f64 v[11:12], v[222:223], v[216:217]
	v_fma_f64 v[222:223], v[222:223], v[214:215], -v[9:10]
	v_add_co_u32 v9, s0, 0x4000, v0
	v_add_co_ci_u32_e64 v10, s0, 0, v1, s0
	v_fma_f64 v[224:225], v[224:225], v[214:215], v[11:12]
	s_clause 0x1
	global_load_dwordx4 v[214:217], v[9:10], off offset:416
	global_load_dwordx4 v[230:233], v[9:10], off offset:1616
	s_waitcnt vmcnt(1) lgkmcnt(0)
	v_mul_f64 v[9:10], v[228:229], v[216:217]
	v_mul_f64 v[11:12], v[226:227], v[216:217]
	v_fma_f64 v[226:227], v[226:227], v[214:215], -v[9:10]
	v_fma_f64 v[228:229], v[228:229], v[214:215], v[11:12]
	ds_read_b128 v[214:217], v6 offset:4800
	ds_read_b128 v[234:237], v6 offset:6000
	s_waitcnt vmcnt(0) lgkmcnt(1)
	v_mul_f64 v[9:10], v[216:217], v[232:233]
	v_mul_f64 v[11:12], v[214:215], v[232:233]
	v_fma_f64 v[214:215], v[214:215], v[230:231], -v[9:10]
	v_add_co_u32 v9, s0, 0x4800, v0
	v_add_co_ci_u32_e64 v10, s0, 0, v1, s0
	v_fma_f64 v[216:217], v[216:217], v[230:231], v[11:12]
	s_clause 0x1
	global_load_dwordx4 v[230:233], v[9:10], off offset:768
	global_load_dwordx4 v[238:241], v[9:10], off offset:1968
	ds_read_b128 v[242:245], v6 offset:7200
	ds_read_b128 v[246:249], v6 offset:8400
	s_waitcnt vmcnt(1) lgkmcnt(2)
	v_mul_f64 v[9:10], v[236:237], v[232:233]
	v_mul_f64 v[11:12], v[234:235], v[232:233]
	v_fma_f64 v[232:233], v[234:235], v[230:231], -v[9:10]
	s_waitcnt vmcnt(0) lgkmcnt(1)
	v_mul_f64 v[9:10], v[244:245], v[240:241]
	v_fma_f64 v[234:235], v[236:237], v[230:231], v[11:12]
	v_mul_f64 v[11:12], v[242:243], v[240:241]
	v_fma_f64 v[236:237], v[242:243], v[238:239], -v[9:10]
	v_add_co_u32 v9, s0, 0x5000, v0
	v_add_co_ci_u32_e64 v10, s0, 0, v1, s0
	v_add_co_u32 v13, s0, 0x5800, v0
	v_add_co_ci_u32_e64 v14, s0, 0, v1, s0
	s_clause 0x1
	global_load_dwordx4 v[240:243], v[9:10], off offset:1120
	global_load_dwordx4 v[250:253], v[13:14], off offset:272
	v_fma_f64 v[238:239], v[244:245], v[238:239], v[11:12]
	s_waitcnt vmcnt(1) lgkmcnt(0)
	v_mul_f64 v[9:10], v[248:249], v[242:243]
	v_mul_f64 v[11:12], v[246:247], v[242:243]
	v_fma_f64 v[242:243], v[246:247], v[240:241], -v[9:10]
	v_fma_f64 v[244:245], v[248:249], v[240:241], v[11:12]
	ds_read_b128 v[246:249], v6 offset:9600
	ds_read_b128 v[9:12], v6 offset:10800
	s_waitcnt vmcnt(0) lgkmcnt(1)
	v_mul_f64 v[15:16], v[248:249], v[252:253]
	v_mul_f64 v[17:18], v[246:247], v[252:253]
	v_fma_f64 v[246:247], v[246:247], v[250:251], -v[15:16]
	v_add_co_u32 v15, s0, 0x6000, v0
	v_add_co_ci_u32_e64 v16, s0, 0, v1, s0
	v_fma_f64 v[248:249], v[248:249], v[250:251], v[17:18]
	s_clause 0x1
	global_load_dwordx4 v[250:253], v[13:14], off offset:1472
	global_load_dwordx4 v[13:16], v[15:16], off offset:624
	s_waitcnt vmcnt(1) lgkmcnt(0)
	v_mul_f64 v[17:18], v[11:12], v[252:253]
	v_mul_f64 v[19:20], v[9:10], v[252:253]
	v_fma_f64 v[9:10], v[9:10], v[250:251], -v[17:18]
	v_fma_f64 v[11:12], v[11:12], v[250:251], v[19:20]
	ds_read_b128 v[250:253], v6 offset:12000
	s_waitcnt vmcnt(0) lgkmcnt(0)
	v_mul_f64 v[17:18], v[252:253], v[15:16]
	v_mul_f64 v[19:20], v[250:251], v[15:16]
	v_fma_f64 v[15:16], v[250:251], v[13:14], -v[17:18]
	v_fma_f64 v[17:18], v[252:253], v[13:14], v[19:20]
	ds_write_b128 v6, v[208:211]
	ds_write_b128 v6, v[218:221] offset:1200
	ds_write_b128 v6, v[222:225] offset:2400
	ds_write_b128 v6, v[226:229] offset:3600
	ds_write_b128 v6, v[214:217] offset:4800
	ds_write_b128 v6, v[232:235] offset:6000
	ds_write_b128 v6, v[236:239] offset:7200
	ds_write_b128 v6, v[242:245] offset:8400
	ds_write_b128 v6, v[246:249] offset:9600
	ds_write_b128 v6, v[9:12] offset:10800
	ds_write_b128 v6, v[15:18] offset:12000
	s_and_saveexec_b32 s1, vcc_lo
	s_cbranch_execz .LBB0_9
; %bb.8:
	v_add_co_u32 v17, s0, 0x800, v212
	v_add_co_ci_u32_e64 v18, s0, 0, v213, s0
	s_clause 0x2
	global_load_dwordx4 v[9:12], v[212:213], off offset:880
	global_load_dwordx4 v[13:16], v[17:18], off offset:32
	global_load_dwordx4 v[208:211], v[17:18], off offset:1232
	v_add_co_u32 v17, s0, 0x1000, v212
	v_add_co_ci_u32_e64 v18, s0, 0, v213, s0
	s_clause 0x1
	global_load_dwordx4 v[214:217], v[17:18], off offset:384
	global_load_dwordx4 v[218:221], v[17:18], off offset:1584
	v_add_co_u32 v17, s0, 0x1800, v212
	v_add_co_ci_u32_e64 v18, s0, 0, v213, s0
	s_clause 0x1
	global_load_dwordx4 v[222:225], v[17:18], off offset:736
	global_load_dwordx4 v[226:229], v[17:18], off offset:1936
	v_add_co_u32 v17, s0, 0x2000, v212
	v_add_co_ci_u32_e64 v18, s0, 0, v213, s0
	global_load_dwordx4 v[230:233], v[17:18], off offset:1088
	v_add_co_u32 v17, s0, 0x2800, v212
	v_add_co_ci_u32_e64 v18, s0, 0, v213, s0
	v_add_co_u32 v19, s0, 0x3000, v212
	v_add_co_ci_u32_e64 v20, s0, 0, v213, s0
	s_clause 0x2
	global_load_dwordx4 v[234:237], v[17:18], off offset:240
	global_load_dwordx4 v[238:241], v[17:18], off offset:1440
	;; [unrolled: 1-line block ×3, first 2 shown]
	ds_read_b128 v[246:249], v6 offset:880
	ds_read_b128 v[250:253], v6 offset:2080
	;; [unrolled: 1-line block ×4, first 2 shown]
	s_waitcnt vmcnt(10) lgkmcnt(3)
	v_mul_f64 v[25:26], v[248:249], v[11:12]
	v_mul_f64 v[11:12], v[246:247], v[11:12]
	s_waitcnt vmcnt(9) lgkmcnt(2)
	v_mul_f64 v[27:28], v[252:253], v[15:16]
	v_mul_f64 v[15:16], v[250:251], v[15:16]
	;; [unrolled: 3-line block ×3, first 2 shown]
	v_fma_f64 v[210:211], v[246:247], v[9:10], -v[25:26]
	v_fma_f64 v[212:213], v[248:249], v[9:10], v[11:12]
	ds_read_b128 v[9:12], v6 offset:5680
	ds_read_b128 v[246:249], v6 offset:6880
	v_fma_f64 v[250:251], v[250:251], v[13:14], -v[27:28]
	s_waitcnt vmcnt(7) lgkmcnt(2)
	v_mul_f64 v[25:26], v[23:24], v[216:217]
	v_mul_f64 v[27:28], v[21:22], v[216:217]
	v_fma_f64 v[252:253], v[252:253], v[13:14], v[15:16]
	v_fma_f64 v[13:14], v[17:18], v[208:209], -v[29:30]
	v_fma_f64 v[15:16], v[19:20], v[208:209], v[31:32]
	ds_read_b128 v[17:20], v6 offset:8080
	s_waitcnt vmcnt(6) lgkmcnt(2)
	v_mul_f64 v[29:30], v[9:10], v[220:221]
	s_waitcnt vmcnt(5) lgkmcnt(1)
	v_mul_f64 v[31:32], v[248:249], v[224:225]
	v_mul_f64 v[33:34], v[11:12], v[220:221]
	;; [unrolled: 1-line block ×3, first 2 shown]
	v_fma_f64 v[21:22], v[21:22], v[214:215], -v[25:26]
	v_fma_f64 v[23:24], v[23:24], v[214:215], v[27:28]
	ds_read_b128 v[214:217], v6 offset:9280
	s_waitcnt vmcnt(4) lgkmcnt(1)
	v_mul_f64 v[254:255], v[19:20], v[228:229]
	v_mul_f64 v[228:229], v[17:18], v[228:229]
	v_fma_f64 v[11:12], v[11:12], v[218:219], v[29:30]
	v_fma_f64 v[246:247], v[246:247], v[222:223], -v[31:32]
	v_fma_f64 v[9:10], v[9:10], v[218:219], -v[33:34]
	ds_read_b128 v[218:221], v6 offset:10480
	ds_read_b128 v[25:28], v6 offset:11680
	v_fma_f64 v[248:249], v[248:249], v[222:223], v[208:209]
	s_waitcnt vmcnt(3) lgkmcnt(2)
	v_mul_f64 v[29:30], v[216:217], v[232:233]
	v_mul_f64 v[31:32], v[214:215], v[232:233]
	ds_read_b128 v[222:225], v6 offset:12880
	v_fma_f64 v[17:18], v[17:18], v[226:227], -v[254:255]
	v_fma_f64 v[19:20], v[19:20], v[226:227], v[228:229]
	s_waitcnt vmcnt(2) lgkmcnt(2)
	v_mul_f64 v[33:34], v[220:221], v[236:237]
	v_mul_f64 v[208:209], v[218:219], v[236:237]
	s_waitcnt vmcnt(1) lgkmcnt(1)
	v_mul_f64 v[226:227], v[27:28], v[240:241]
	v_mul_f64 v[228:229], v[25:26], v[240:241]
	v_fma_f64 v[214:215], v[214:215], v[230:231], -v[29:30]
	v_fma_f64 v[216:217], v[216:217], v[230:231], v[31:32]
	s_waitcnt vmcnt(0) lgkmcnt(0)
	v_mul_f64 v[29:30], v[224:225], v[244:245]
	v_mul_f64 v[31:32], v[222:223], v[244:245]
	v_fma_f64 v[218:219], v[218:219], v[234:235], -v[33:34]
	v_fma_f64 v[220:221], v[220:221], v[234:235], v[208:209]
	v_fma_f64 v[25:26], v[25:26], v[238:239], -v[226:227]
	v_fma_f64 v[27:28], v[27:28], v[238:239], v[228:229]
	;; [unrolled: 2-line block ×3, first 2 shown]
	ds_write_b128 v6, v[210:213] offset:880
	ds_write_b128 v6, v[250:253] offset:2080
	;; [unrolled: 1-line block ×11, first 2 shown]
.LBB0_9:
	s_or_b32 exec_lo, exec_lo, s1
	s_waitcnt lgkmcnt(0)
	s_waitcnt_vscnt null, 0x0
	s_barrier
	buffer_gl0_inv
	ds_read_b128 v[244:247], v6
	ds_read_b128 v[248:251], v6 offset:1200
	ds_read_b128 v[236:239], v6 offset:2400
	;; [unrolled: 1-line block ×10, first 2 shown]
	s_and_saveexec_b32 s0, vcc_lo
	s_cbranch_execz .LBB0_11
; %bb.10:
	ds_read_b128 v[192:195], v6 offset:880
	ds_read_b128 v[200:203], v6 offset:2080
	;; [unrolled: 1-line block ×11, first 2 shown]
	s_waitcnt lgkmcnt(0)
	buffer_store_dword v9, off, s[40:43], 0 ; 4-byte Folded Spill
	buffer_store_dword v10, off, s[40:43], 0 offset:4 ; 4-byte Folded Spill
	buffer_store_dword v11, off, s[40:43], 0 offset:8 ; 4-byte Folded Spill
	;; [unrolled: 1-line block ×3, first 2 shown]
.LBB0_11:
	s_or_b32 exec_lo, exec_lo, s0
	s_waitcnt lgkmcnt(9)
	v_add_f64 v[9:10], v[244:245], v[248:249]
	v_add_f64 v[11:12], v[246:247], v[250:251]
	s_waitcnt lgkmcnt(0)
	v_add_f64 v[15:16], v[250:251], -v[254:255]
	s_mov_b32 s12, 0xf8bb580b
	s_mov_b32 s24, 0x8eee2c13
	;; [unrolled: 1-line block ×19, first 2 shown]
	v_add_f64 v[9:10], v[9:10], v[236:237]
	v_add_f64 v[11:12], v[11:12], v[238:239]
	v_mul_f64 v[17:18], v[15:16], s[12:13]
	v_mul_f64 v[25:26], v[15:16], s[24:25]
	;; [unrolled: 1-line block ×3, first 2 shown]
	s_mov_b32 s29, 0xbfeeb42a
	v_add_f64 v[13:14], v[248:249], -v[252:253]
	s_mov_b32 s5, 0x3fe14ced
	s_mov_b32 s4, s12
	;; [unrolled: 1-line block ×9, first 2 shown]
	s_waitcnt_vscnt null, 0x0
	s_barrier
	buffer_gl0_inv
	v_add_f64 v[9:10], v[9:10], v[228:229]
	v_add_f64 v[11:12], v[11:12], v[230:231]
	;; [unrolled: 1-line block ×18, first 2 shown]
	v_mul_f64 v[254:255], v[15:16], s[22:23]
	v_mul_f64 v[15:16], v[15:16], s[30:31]
	v_fma_f64 v[19:20], v[9:10], s[0:1], v[17:18]
	v_mul_f64 v[21:22], v[11:12], s[0:1]
	v_fma_f64 v[17:18], v[9:10], s[0:1], -v[17:18]
	v_fma_f64 v[27:28], v[9:10], s[6:7], v[25:26]
	v_mul_f64 v[29:30], v[11:12], s[6:7]
	v_fma_f64 v[25:26], v[9:10], s[6:7], -v[25:26]
	;; [unrolled: 3-line block ×5, first 2 shown]
	v_add_f64 v[15:16], v[238:239], v[242:243]
	v_add_f64 v[238:239], v[238:239], -v[242:243]
	v_add_f64 v[19:20], v[244:245], v[19:20]
	v_fma_f64 v[23:24], v[13:14], s[4:5], v[21:22]
	v_fma_f64 v[21:22], v[13:14], s[12:13], v[21:22]
	v_add_f64 v[17:18], v[244:245], v[17:18]
	v_fma_f64 v[31:32], v[13:14], s[18:19], v[29:30]
	v_fma_f64 v[29:30], v[13:14], s[24:25], v[29:30]
	;; [unrolled: 3-line block ×5, first 2 shown]
	v_add_f64 v[13:14], v[236:237], v[240:241]
	v_add_f64 v[236:237], v[236:237], -v[240:241]
	v_mul_f64 v[240:241], v[238:239], s[24:25]
	v_add_f64 v[33:34], v[244:245], v[33:34]
	v_add_f64 v[35:36], v[244:245], v[35:36]
	v_add_f64 v[41:42], v[244:245], v[41:42]
	v_add_f64 v[254:255], v[244:245], v[254:255]
	v_add_f64 v[9:10], v[244:245], v[9:10]
	v_add_f64 v[23:24], v[246:247], v[23:24]
	v_add_f64 v[21:22], v[246:247], v[21:22]
	v_add_f64 v[31:32], v[246:247], v[31:32]
	v_add_f64 v[29:30], v[246:247], v[29:30]
	v_add_f64 v[252:253], v[246:247], v[252:253]
	v_add_f64 v[250:251], v[246:247], v[250:251]
	v_add_f64 v[39:40], v[246:247], v[39:40]
	v_add_f64 v[37:38], v[246:247], v[37:38]
	v_add_f64 v[3:4], v[246:247], v[3:4]
	v_add_f64 v[11:12], v[246:247], v[11:12]
	v_fma_f64 v[242:243], v[13:14], s[6:7], v[240:241]
	v_fma_f64 v[240:241], v[13:14], s[6:7], -v[240:241]
	v_add_f64 v[19:20], v[242:243], v[19:20]
	v_mul_f64 v[242:243], v[15:16], s[6:7]
	v_add_f64 v[17:18], v[240:241], v[17:18]
	v_fma_f64 v[240:241], v[236:237], s[24:25], v[242:243]
	v_fma_f64 v[244:245], v[236:237], s[18:19], v[242:243]
	v_add_f64 v[21:22], v[240:241], v[21:22]
	v_mul_f64 v[240:241], v[238:239], s[22:23]
	v_add_f64 v[23:24], v[244:245], v[23:24]
	v_fma_f64 v[242:243], v[13:14], s[20:21], v[240:241]
	v_fma_f64 v[240:241], v[13:14], s[20:21], -v[240:241]
	v_add_f64 v[27:28], v[242:243], v[27:28]
	v_mul_f64 v[242:243], v[15:16], s[20:21]
	v_add_f64 v[25:26], v[240:241], v[25:26]
	v_fma_f64 v[240:241], v[236:237], s[22:23], v[242:243]
	v_fma_f64 v[244:245], v[236:237], s[36:37], v[242:243]
	v_add_f64 v[29:30], v[240:241], v[29:30]
	v_mul_f64 v[240:241], v[238:239], s[34:35]
	v_add_f64 v[31:32], v[244:245], v[31:32]
	v_mul_f64 v[244:245], v[15:16], s[28:29]
	v_fma_f64 v[242:243], v[13:14], s[28:29], v[240:241]
	v_fma_f64 v[240:241], v[13:14], s[28:29], -v[240:241]
	v_fma_f64 v[246:247], v[236:237], s[30:31], v[244:245]
	v_add_f64 v[242:243], v[242:243], v[248:249]
	v_add_f64 v[33:34], v[240:241], v[33:34]
	v_fma_f64 v[240:241], v[236:237], s[34:35], v[244:245]
	v_mul_f64 v[244:245], v[238:239], s[16:17]
	v_mul_f64 v[238:239], v[238:239], s[4:5]
	v_add_f64 v[246:247], v[246:247], v[252:253]
	v_add_f64 v[240:241], v[240:241], v[250:251]
	v_fma_f64 v[248:249], v[13:14], s[14:15], v[244:245]
	v_fma_f64 v[244:245], v[13:14], s[14:15], -v[244:245]
	v_add_f64 v[35:36], v[248:249], v[35:36]
	v_mul_f64 v[248:249], v[15:16], s[14:15]
	v_add_f64 v[41:42], v[244:245], v[41:42]
	v_mul_f64 v[15:16], v[15:16], s[0:1]
	v_fma_f64 v[244:245], v[236:237], s[16:17], v[248:249]
	v_fma_f64 v[250:251], v[236:237], s[26:27], v[248:249]
	;; [unrolled: 1-line block ×3, first 2 shown]
	v_add_f64 v[37:38], v[244:245], v[37:38]
	v_fma_f64 v[244:245], v[13:14], s[0:1], v[238:239]
	v_fma_f64 v[13:14], v[13:14], s[0:1], -v[238:239]
	v_add_f64 v[3:4], v[248:249], v[3:4]
	v_add_f64 v[39:40], v[250:251], v[39:40]
	;; [unrolled: 1-line block ×4, first 2 shown]
	v_fma_f64 v[13:14], v[236:237], s[4:5], v[15:16]
	v_add_f64 v[15:16], v[230:231], v[234:235]
	v_add_f64 v[230:231], v[230:231], -v[234:235]
	v_add_f64 v[11:12], v[13:14], v[11:12]
	v_add_f64 v[13:14], v[228:229], v[232:233]
	v_add_f64 v[228:229], v[228:229], -v[232:233]
	v_mul_f64 v[232:233], v[230:231], s[26:27]
	v_fma_f64 v[234:235], v[13:14], s[14:15], v[232:233]
	v_fma_f64 v[232:233], v[13:14], s[14:15], -v[232:233]
	v_add_f64 v[19:20], v[234:235], v[19:20]
	v_mul_f64 v[234:235], v[15:16], s[14:15]
	v_add_f64 v[17:18], v[232:233], v[17:18]
	v_fma_f64 v[232:233], v[228:229], s[26:27], v[234:235]
	v_fma_f64 v[236:237], v[228:229], s[16:17], v[234:235]
	v_add_f64 v[21:22], v[232:233], v[21:22]
	v_mul_f64 v[232:233], v[230:231], s[34:35]
	v_add_f64 v[23:24], v[236:237], v[23:24]
	v_fma_f64 v[234:235], v[13:14], s[28:29], v[232:233]
	v_fma_f64 v[232:233], v[13:14], s[28:29], -v[232:233]
	v_add_f64 v[27:28], v[234:235], v[27:28]
	v_mul_f64 v[234:235], v[15:16], s[28:29]
	v_add_f64 v[25:26], v[232:233], v[25:26]
	v_fma_f64 v[232:233], v[228:229], s[34:35], v[234:235]
	v_fma_f64 v[236:237], v[228:229], s[30:31], v[234:235]
	v_add_f64 v[29:30], v[232:233], v[29:30]
	v_mul_f64 v[232:233], v[230:231], s[18:19]
	v_add_f64 v[31:32], v[236:237], v[31:32]
	v_mul_f64 v[236:237], v[15:16], s[6:7]
	v_fma_f64 v[234:235], v[13:14], s[6:7], v[232:233]
	v_fma_f64 v[232:233], v[13:14], s[6:7], -v[232:233]
	v_fma_f64 v[238:239], v[228:229], s[24:25], v[236:237]
	v_add_f64 v[234:235], v[234:235], v[242:243]
	v_add_f64 v[33:34], v[232:233], v[33:34]
	v_fma_f64 v[232:233], v[228:229], s[18:19], v[236:237]
	v_mul_f64 v[236:237], v[230:231], s[12:13]
	v_mul_f64 v[230:231], v[230:231], s[22:23]
	v_add_f64 v[238:239], v[238:239], v[246:247]
	v_add_f64 v[232:233], v[232:233], v[240:241]
	v_fma_f64 v[240:241], v[13:14], s[0:1], v[236:237]
	v_fma_f64 v[236:237], v[13:14], s[0:1], -v[236:237]
	v_add_f64 v[35:36], v[240:241], v[35:36]
	v_mul_f64 v[240:241], v[15:16], s[0:1]
	v_add_f64 v[41:42], v[236:237], v[41:42]
	v_mul_f64 v[15:16], v[15:16], s[20:21]
	v_fma_f64 v[236:237], v[228:229], s[12:13], v[240:241]
	v_fma_f64 v[242:243], v[228:229], s[4:5], v[240:241]
	;; [unrolled: 1-line block ×3, first 2 shown]
	v_add_f64 v[37:38], v[236:237], v[37:38]
	v_fma_f64 v[236:237], v[13:14], s[20:21], v[230:231]
	v_fma_f64 v[13:14], v[13:14], s[20:21], -v[230:231]
	v_add_f64 v[3:4], v[70:71], v[3:4]
	v_add_f64 v[70:71], v[220:221], -v[224:225]
	v_add_f64 v[39:40], v[242:243], v[39:40]
	v_add_f64 v[230:231], v[214:215], v[218:219]
	;; [unrolled: 1-line block ×4, first 2 shown]
	v_fma_f64 v[13:14], v[228:229], s[22:23], v[15:16]
	v_add_f64 v[15:16], v[222:223], v[226:227]
	v_add_f64 v[11:12], v[13:14], v[11:12]
	;; [unrolled: 1-line block ×3, first 2 shown]
	v_add_f64 v[220:221], v[222:223], -v[226:227]
	v_mul_f64 v[222:223], v[220:221], s[22:23]
	v_fma_f64 v[224:225], v[13:14], s[20:21], v[222:223]
	v_fma_f64 v[222:223], v[13:14], s[20:21], -v[222:223]
	v_add_f64 v[19:20], v[224:225], v[19:20]
	v_mul_f64 v[224:225], v[15:16], s[20:21]
	v_add_f64 v[17:18], v[222:223], v[17:18]
	v_fma_f64 v[222:223], v[70:71], s[22:23], v[224:225]
	v_fma_f64 v[226:227], v[70:71], s[36:37], v[224:225]
	v_add_f64 v[21:22], v[222:223], v[21:22]
	v_mul_f64 v[222:223], v[220:221], s[16:17]
	v_add_f64 v[23:24], v[226:227], v[23:24]
	v_fma_f64 v[224:225], v[13:14], s[14:15], v[222:223]
	v_add_f64 v[248:249], v[224:225], v[27:28]
	v_mul_f64 v[27:28], v[15:16], s[14:15]
	v_fma_f64 v[224:225], v[70:71], s[26:27], v[27:28]
	v_add_f64 v[250:251], v[224:225], v[31:32]
	v_fma_f64 v[31:32], v[13:14], s[14:15], -v[222:223]
	v_add_f64 v[224:225], v[212:213], v[216:217]
	v_add_f64 v[212:213], v[212:213], -v[216:217]
	v_add_f64 v[252:253], v[31:32], v[25:26]
	v_fma_f64 v[25:26], v[70:71], s[16:17], v[27:28]
	v_mul_f64 v[31:32], v[230:231], s[20:21]
	v_add_f64 v[254:255], v[25:26], v[29:30]
	v_mul_f64 v[25:26], v[220:221], s[12:13]
	v_fma_f64 v[27:28], v[13:14], s[0:1], v[25:26]
	v_fma_f64 v[25:26], v[13:14], s[0:1], -v[25:26]
	v_add_f64 v[246:247], v[27:28], v[234:235]
	v_mul_f64 v[27:28], v[15:16], s[0:1]
	v_add_f64 v[242:243], v[25:26], v[33:34]
	v_fma_f64 v[25:26], v[70:71], s[12:13], v[27:28]
	v_fma_f64 v[29:30], v[70:71], s[4:5], v[27:28]
	v_add_f64 v[244:245], v[25:26], v[232:233]
	v_mul_f64 v[25:26], v[220:221], s[30:31]
	v_add_f64 v[240:241], v[29:30], v[238:239]
	v_fma_f64 v[27:28], v[13:14], s[28:29], v[25:26]
	v_fma_f64 v[25:26], v[13:14], s[28:29], -v[25:26]
	v_add_f64 v[232:233], v[27:28], v[35:36]
	v_mul_f64 v[27:28], v[15:16], s[28:29]
	v_add_f64 v[236:237], v[25:26], v[41:42]
	v_mul_f64 v[15:16], v[15:16], s[6:7]
	v_fma_f64 v[25:26], v[70:71], s[30:31], v[27:28]
	v_fma_f64 v[29:30], v[70:71], s[34:35], v[27:28]
	v_add_f64 v[238:239], v[25:26], v[37:38]
	v_mul_f64 v[25:26], v[220:221], s[18:19]
	v_add_f64 v[234:235], v[29:30], v[39:40]
	v_fma_f64 v[27:28], v[13:14], s[6:7], v[25:26]
	v_add_f64 v[228:229], v[27:28], v[68:69]
	v_fma_f64 v[27:28], v[70:71], s[24:25], v[15:16]
	v_add_f64 v[226:227], v[27:28], v[3:4]
	v_fma_f64 v[3:4], v[13:14], s[6:7], -v[25:26]
	v_fma_f64 v[27:28], v[212:213], s[36:37], v[31:32]
	v_add_f64 v[222:223], v[3:4], v[9:10]
	v_fma_f64 v[3:4], v[70:71], s[18:19], v[15:16]
	v_mul_f64 v[15:16], v[230:231], s[28:29]
	v_add_f64 v[27:28], v[27:28], v[240:241]
	v_add_f64 v[220:221], v[3:4], v[11:12]
	v_add_f64 v[3:4], v[214:215], -v[218:219]
	v_fma_f64 v[11:12], v[212:213], s[34:35], v[15:16]
	v_fma_f64 v[15:16], v[212:213], s[30:31], v[15:16]
	v_mul_f64 v[29:30], v[3:4], s[22:23]
	v_mul_f64 v[13:14], v[3:4], s[30:31]
	v_add_f64 v[15:16], v[15:16], v[21:22]
	v_mul_f64 v[21:22], v[3:4], s[4:5]
	v_add_f64 v[11:12], v[11:12], v[23:24]
	v_mul_f64 v[23:24], v[230:231], s[0:1]
	v_fma_f64 v[25:26], v[224:225], s[20:21], v[29:30]
	v_fma_f64 v[29:30], v[224:225], s[20:21], -v[29:30]
	v_fma_f64 v[9:10], v[224:225], s[28:29], v[13:14]
	v_fma_f64 v[13:14], v[224:225], s[28:29], -v[13:14]
	v_add_f64 v[25:26], v[25:26], v[246:247]
	v_add_f64 v[214:215], v[29:30], v[242:243]
	v_fma_f64 v[29:30], v[212:213], s[22:23], v[31:32]
	v_add_f64 v[9:10], v[9:10], v[19:20]
	v_add_f64 v[13:14], v[13:14], v[17:18]
	v_fma_f64 v[17:18], v[224:225], s[0:1], v[21:22]
	v_fma_f64 v[19:20], v[212:213], s[12:13], v[23:24]
	v_fma_f64 v[21:22], v[224:225], s[0:1], -v[21:22]
	v_fma_f64 v[23:24], v[212:213], s[4:5], v[23:24]
	v_add_f64 v[216:217], v[29:30], v[244:245]
	v_mul_f64 v[29:30], v[3:4], s[18:19]
	v_mul_f64 v[3:4], v[3:4], s[26:27]
	v_add_f64 v[17:18], v[17:18], v[248:249]
	v_add_f64 v[19:20], v[19:20], v[250:251]
	;; [unrolled: 1-line block ×4, first 2 shown]
	v_fma_f64 v[31:32], v[224:225], s[6:7], v[29:30]
	v_fma_f64 v[29:30], v[224:225], s[6:7], -v[29:30]
	v_add_f64 v[232:233], v[31:32], v[232:233]
	v_mul_f64 v[31:32], v[230:231], s[6:7]
	v_add_f64 v[236:237], v[29:30], v[236:237]
	v_fma_f64 v[29:30], v[212:213], s[18:19], v[31:32]
	v_fma_f64 v[33:34], v[212:213], s[24:25], v[31:32]
	v_add_f64 v[238:239], v[29:30], v[238:239]
	v_fma_f64 v[29:30], v[224:225], s[14:15], v[3:4]
	v_fma_f64 v[3:4], v[224:225], s[14:15], -v[3:4]
	v_add_f64 v[234:235], v[33:34], v[234:235]
	v_add_f64 v[228:229], v[29:30], v[228:229]
	v_mul_f64 v[29:30], v[230:231], s[14:15]
	v_add_f64 v[218:219], v[3:4], v[222:223]
	v_fma_f64 v[31:32], v[212:213], s[16:17], v[29:30]
	v_fma_f64 v[3:4], v[212:213], s[26:27], v[29:30]
	v_add_f64 v[230:231], v[31:32], v[226:227]
	v_add_f64 v[220:221], v[3:4], v[220:221]
	ds_write_b128 v8, v[208:211]
	ds_write_b128 v8, v[9:12] offset:16
	ds_write_b128 v8, v[17:20] offset:32
	;; [unrolled: 1-line block ×10, first 2 shown]
	s_and_saveexec_b32 s33, vcc_lo
	s_cbranch_execz .LBB0_13
; %bb.12:
	s_clause 0x3
	buffer_load_dword v208, off, s[40:43], 0
	buffer_load_dword v209, off, s[40:43], 0 offset:4
	buffer_load_dword v210, off, s[40:43], 0 offset:8
	;; [unrolled: 1-line block ×3, first 2 shown]
	v_add_f64 v[3:4], v[194:195], v[202:203]
	v_add_f64 v[8:9], v[192:193], v[200:201]
	v_add_f64 v[24:25], v[104:105], -v[108:109]
	v_add_f64 v[28:29], v[96:97], -v[100:101]
	v_add_f64 v[30:31], v[104:105], v[108:109]
	v_add_f64 v[36:37], v[96:97], v[100:101]
	;; [unrolled: 1-line block ×3, first 2 shown]
	v_add_f64 v[32:33], v[106:107], -v[110:111]
	v_add_f64 v[34:35], v[98:99], v[102:103]
	v_add_f64 v[38:39], v[98:99], -v[102:103]
	v_add_f64 v[40:41], v[204:205], -v[92:93]
	v_add_f64 v[70:71], v[204:205], v[92:93]
	v_add_f64 v[68:69], v[206:207], v[94:95]
	;; [unrolled: 1-line block ×4, first 2 shown]
	v_mul_f64 v[218:219], v[24:25], s[26:27]
	v_mul_f64 v[220:221], v[32:33], s[26:27]
	v_add_f64 v[3:4], v[3:4], v[206:207]
	v_add_f64 v[8:9], v[8:9], v[204:205]
	;; [unrolled: 1-line block ×10, first 2 shown]
	v_add_f64 v[100:101], v[196:197], -v[72:73]
	v_add_f64 v[102:103], v[198:199], v[74:75]
	v_add_f64 v[3:4], v[3:4], v[94:95]
	;; [unrolled: 1-line block ×3, first 2 shown]
	v_add_f64 v[94:95], v[206:207], -v[94:95]
	v_add_f64 v[3:4], v[3:4], v[74:75]
	v_add_f64 v[8:9], v[8:9], v[72:73]
	;; [unrolled: 1-line block ×3, first 2 shown]
	v_add_f64 v[74:75], v[198:199], -v[74:75]
	s_waitcnt vmcnt(2)
	v_add_f64 v[10:11], v[200:201], -v[208:209]
	s_waitcnt vmcnt(0)
	v_add_f64 v[12:13], v[202:203], -v[210:211]
	v_add_f64 v[14:15], v[202:203], v[210:211]
	v_add_f64 v[96:97], v[200:201], v[208:209]
	v_add_f64 v[8:9], v[8:9], v[208:209]
	v_mul_f64 v[16:17], v[10:11], s[30:31]
	v_mul_f64 v[18:19], v[10:11], s[22:23]
	;; [unrolled: 1-line block ×10, first 2 shown]
	v_add_f64 v[10:11], v[3:4], v[210:211]
	v_fma_f64 v[110:111], v[14:15], s[28:29], v[16:17]
	v_fma_f64 v[196:197], v[14:15], s[20:21], v[18:19]
	v_fma_f64 v[18:19], v[14:15], s[20:21], -v[18:19]
	v_fma_f64 v[3:4], v[14:15], s[14:15], v[20:21]
	v_fma_f64 v[20:21], v[14:15], s[14:15], -v[20:21]
	v_fma_f64 v[202:203], v[96:97], s[20:21], -v[104:105]
	;; [unrolled: 1-line block ×3, first 2 shown]
	v_fma_f64 v[198:199], v[14:15], s[6:7], v[22:23]
	v_fma_f64 v[22:23], v[14:15], s[6:7], -v[22:23]
	v_fma_f64 v[200:201], v[14:15], s[0:1], v[92:93]
	v_fma_f64 v[14:15], v[14:15], s[0:1], -v[92:93]
	v_fma_f64 v[92:93], v[96:97], s[28:29], -v[98:99]
	v_fma_f64 v[98:99], v[96:97], s[28:29], v[98:99]
	v_fma_f64 v[104:105], v[96:97], s[20:21], v[104:105]
	v_fma_f64 v[204:205], v[96:97], s[14:15], -v[106:107]
	v_fma_f64 v[106:107], v[96:97], s[14:15], v[106:107]
	v_fma_f64 v[206:207], v[96:97], s[6:7], -v[108:109]
	;; [unrolled: 2-line block ×3, first 2 shown]
	v_fma_f64 v[12:13], v[96:97], s[0:1], v[12:13]
	v_add_f64 v[96:97], v[194:195], v[110:111]
	v_add_f64 v[110:111], v[194:195], v[196:197]
	;; [unrolled: 1-line block ×6, first 2 shown]
	v_mul_f64 v[18:19], v[100:101], s[4:5]
	v_mul_f64 v[20:21], v[74:75], s[4:5]
	v_add_f64 v[16:17], v[194:195], v[16:17]
	v_add_f64 v[198:199], v[194:195], v[198:199]
	;; [unrolled: 1-line block ×14, first 2 shown]
	v_mul_f64 v[22:23], v[40:41], s[22:23]
	v_fma_f64 v[12:13], v[102:103], s[0:1], v[18:19]
	v_fma_f64 v[14:15], v[72:73], s[0:1], -v[20:21]
	v_fma_f64 v[18:19], v[102:103], s[0:1], -v[18:19]
	v_add_f64 v[12:13], v[12:13], v[96:97]
	v_add_f64 v[14:15], v[14:15], v[92:93]
	v_fma_f64 v[92:93], v[68:69], s[20:21], v[22:23]
	v_add_f64 v[16:17], v[18:19], v[16:17]
	v_fma_f64 v[18:19], v[72:73], s[0:1], v[20:21]
	v_fma_f64 v[20:21], v[68:69], s[20:21], -v[22:23]
	v_fma_f64 v[22:23], v[30:31], s[14:15], v[220:221]
	v_add_f64 v[12:13], v[92:93], v[12:13]
	v_mul_f64 v[92:93], v[94:95], s[22:23]
	v_add_f64 v[18:19], v[18:19], v[98:99]
	v_add_f64 v[16:17], v[20:21], v[16:17]
	v_mul_f64 v[98:99], v[40:41], s[12:13]
	v_fma_f64 v[96:97], v[70:71], s[20:21], -v[92:93]
	v_fma_f64 v[20:21], v[70:71], s[20:21], v[92:93]
	v_mul_f64 v[92:93], v[100:101], s[16:17]
	v_add_f64 v[14:15], v[96:97], v[14:15]
	v_mul_f64 v[96:97], v[28:29], s[18:19]
	v_add_f64 v[18:19], v[20:21], v[18:19]
	v_fma_f64 v[214:215], v[34:35], s[6:7], v[96:97]
	v_fma_f64 v[20:21], v[34:35], s[6:7], -v[96:97]
	v_mul_f64 v[96:97], v[74:75], s[16:17]
	v_add_f64 v[12:13], v[214:215], v[12:13]
	v_mul_f64 v[214:215], v[38:39], s[18:19]
	v_add_f64 v[16:17], v[20:21], v[16:17]
	v_fma_f64 v[20:21], v[36:37], s[6:7], v[214:215]
	v_fma_f64 v[216:217], v[36:37], s[6:7], -v[214:215]
	v_add_f64 v[20:21], v[20:21], v[18:19]
	v_fma_f64 v[18:19], v[26:27], s[14:15], -v[218:219]
	v_add_f64 v[216:217], v[216:217], v[14:15]
	v_fma_f64 v[14:15], v[26:27], s[14:15], v[218:219]
	v_mul_f64 v[218:219], v[24:25], s[18:19]
	v_add_f64 v[18:19], v[18:19], v[16:17]
	v_add_f64 v[16:17], v[22:23], v[20:21]
	v_fma_f64 v[20:21], v[102:103], s[14:15], v[92:93]
	v_fma_f64 v[22:23], v[72:73], s[14:15], -v[96:97]
	v_add_f64 v[14:15], v[14:15], v[12:13]
	v_fma_f64 v[12:13], v[30:31], s[14:15], -v[220:221]
	v_mul_f64 v[220:221], v[32:33], s[18:19]
	v_fma_f64 v[92:93], v[102:103], s[14:15], -v[92:93]
	v_fma_f64 v[96:97], v[72:73], s[14:15], v[96:97]
	v_add_f64 v[20:21], v[20:21], v[110:111]
	v_fma_f64 v[110:111], v[68:69], s[0:1], v[98:99]
	v_add_f64 v[22:23], v[22:23], v[196:197]
	v_add_f64 v[12:13], v[12:13], v[216:217]
	v_fma_f64 v[98:99], v[68:69], s[0:1], -v[98:99]
	v_add_f64 v[92:93], v[92:93], v[202:203]
	v_add_f64 v[96:97], v[96:97], v[104:105]
	v_mul_f64 v[104:105], v[100:101], s[34:35]
	v_add_f64 v[20:21], v[110:111], v[20:21]
	v_mul_f64 v[110:111], v[94:95], s[12:13]
	v_add_f64 v[92:93], v[98:99], v[92:93]
	v_fma_f64 v[202:203], v[102:103], s[28:29], v[104:105]
	v_fma_f64 v[104:105], v[102:103], s[28:29], -v[104:105]
	v_fma_f64 v[196:197], v[70:71], s[0:1], -v[110:111]
	v_fma_f64 v[98:99], v[70:71], s[0:1], v[110:111]
	v_add_f64 v[3:4], v[202:203], v[3:4]
	v_mul_f64 v[202:203], v[74:75], s[34:35]
	v_add_f64 v[104:105], v[104:105], v[210:211]
	v_add_f64 v[22:23], v[196:197], v[22:23]
	v_mul_f64 v[196:197], v[28:29], s[30:31]
	v_add_f64 v[96:97], v[98:99], v[96:97]
	v_mul_f64 v[98:99], v[40:41], s[18:19]
	v_fma_f64 v[214:215], v[34:35], s[28:29], v[196:197]
	v_fma_f64 v[196:197], v[34:35], s[28:29], -v[196:197]
	v_fma_f64 v[110:111], v[68:69], s[6:7], v[98:99]
	v_fma_f64 v[98:99], v[68:69], s[6:7], -v[98:99]
	v_add_f64 v[20:21], v[214:215], v[20:21]
	v_mul_f64 v[214:215], v[38:39], s[30:31]
	v_add_f64 v[92:93], v[196:197], v[92:93]
	v_add_f64 v[98:99], v[98:99], v[104:105]
	;; [unrolled: 1-line block ×3, first 2 shown]
	v_mul_f64 v[110:111], v[94:95], s[18:19]
	v_fma_f64 v[216:217], v[36:37], s[28:29], -v[214:215]
	v_fma_f64 v[196:197], v[36:37], s[28:29], v[214:215]
	v_add_f64 v[216:217], v[216:217], v[22:23]
	v_fma_f64 v[22:23], v[26:27], s[6:7], v[218:219]
	v_add_f64 v[96:97], v[196:197], v[96:97]
	v_mul_f64 v[196:197], v[28:29], s[12:13]
	v_add_f64 v[22:23], v[22:23], v[20:21]
	v_fma_f64 v[20:21], v[30:31], s[6:7], -v[220:221]
	v_fma_f64 v[104:105], v[34:35], s[0:1], -v[196:197]
	v_fma_f64 v[214:215], v[34:35], s[0:1], v[196:197]
	v_add_f64 v[20:21], v[20:21], v[216:217]
	v_mul_f64 v[216:217], v[100:101], s[24:25]
	v_add_f64 v[98:99], v[104:105], v[98:99]
	v_fma_f64 v[104:105], v[72:73], s[28:29], v[202:203]
	v_add_f64 v[3:4], v[214:215], v[3:4]
	v_mul_f64 v[214:215], v[38:39], s[12:13]
	v_mul_f64 v[100:101], v[100:101], s[22:23]
	v_fma_f64 v[222:223], v[102:103], s[6:7], -v[216:217]
	v_add_f64 v[104:105], v[104:105], v[106:107]
	v_fma_f64 v[106:107], v[70:71], s[6:7], v[110:111]
	v_add_f64 v[194:195], v[222:223], v[194:195]
	v_mul_f64 v[222:223], v[74:75], s[24:25]
	v_mul_f64 v[74:75], v[74:75], s[22:23]
	v_add_f64 v[104:105], v[106:107], v[104:105]
	v_fma_f64 v[106:107], v[36:37], s[0:1], v[214:215]
	v_fma_f64 v[224:225], v[72:73], s[6:7], v[222:223]
	v_add_f64 v[104:105], v[106:107], v[104:105]
	v_fma_f64 v[106:107], v[102:103], s[20:21], v[100:101]
	v_fma_f64 v[100:101], v[102:103], s[20:21], -v[100:101]
	v_add_f64 v[192:193], v[224:225], v[192:193]
	v_fma_f64 v[224:225], v[72:73], s[28:29], -v[202:203]
	v_add_f64 v[106:107], v[106:107], v[198:199]
	v_add_f64 v[100:101], v[100:101], v[212:213]
	;; [unrolled: 1-line block ×3, first 2 shown]
	v_mul_f64 v[224:225], v[40:41], s[26:27]
	v_mul_f64 v[40:41], v[40:41], s[34:35]
	v_fma_f64 v[226:227], v[68:69], s[14:15], -v[224:225]
	v_add_f64 v[194:195], v[226:227], v[194:195]
	v_mul_f64 v[226:227], v[94:95], s[26:27]
	v_mul_f64 v[94:95], v[94:95], s[34:35]
	v_fma_f64 v[228:229], v[70:71], s[14:15], v[226:227]
	v_fma_f64 v[196:197], v[70:71], s[28:29], -v[94:95]
	v_fma_f64 v[94:95], v[70:71], s[28:29], v[94:95]
	v_add_f64 v[192:193], v[228:229], v[192:193]
	v_fma_f64 v[228:229], v[70:71], s[6:7], -v[110:111]
	v_fma_f64 v[110:111], v[68:69], s[28:29], v[40:41]
	v_fma_f64 v[40:41], v[68:69], s[28:29], -v[40:41]
	v_fma_f64 v[68:69], v[68:69], s[14:15], v[224:225]
	v_fma_f64 v[70:71], v[70:71], s[14:15], -v[226:227]
	v_add_f64 v[204:205], v[228:229], v[204:205]
	v_mul_f64 v[228:229], v[28:29], s[22:23]
	v_mul_f64 v[28:29], v[28:29], s[16:17]
	v_add_f64 v[106:107], v[110:111], v[106:107]
	v_add_f64 v[40:41], v[40:41], v[100:101]
	v_fma_f64 v[100:101], v[102:103], s[6:7], v[216:217]
	v_mul_f64 v[102:103], v[24:25], s[22:23]
	v_fma_f64 v[230:231], v[34:35], s[20:21], -v[228:229]
	v_fma_f64 v[110:111], v[34:35], s[14:15], v[28:29]
	v_fma_f64 v[28:29], v[34:35], s[14:15], -v[28:29]
	v_fma_f64 v[34:35], v[34:35], s[20:21], v[228:229]
	v_add_f64 v[194:195], v[230:231], v[194:195]
	v_add_f64 v[106:107], v[110:111], v[106:107]
	v_fma_f64 v[110:111], v[72:73], s[20:21], -v[74:75]
	v_fma_f64 v[74:75], v[72:73], s[20:21], v[74:75]
	v_mul_f64 v[230:231], v[38:39], s[22:23]
	v_mul_f64 v[38:39], v[38:39], s[16:17]
	v_fma_f64 v[72:73], v[72:73], s[6:7], -v[222:223]
	v_add_f64 v[28:29], v[28:29], v[40:41]
	v_mul_f64 v[40:41], v[32:33], s[4:5]
	v_add_f64 v[110:111], v[110:111], v[206:207]
	v_add_f64 v[74:75], v[74:75], v[108:109]
	v_fma_f64 v[232:233], v[36:37], s[20:21], v[230:231]
	v_add_f64 v[72:73], v[72:73], v[208:209]
	v_add_f64 v[110:111], v[196:197], v[110:111]
	;; [unrolled: 1-line block ×4, first 2 shown]
	v_mul_f64 v[100:101], v[24:25], s[30:31]
	v_mul_f64 v[24:25], v[24:25], s[4:5]
	v_fma_f64 v[196:197], v[26:27], s[20:21], v[102:103]
	v_add_f64 v[70:71], v[70:71], v[72:73]
	v_fma_f64 v[102:103], v[26:27], s[20:21], -v[102:103]
	v_add_f64 v[192:193], v[232:233], v[192:193]
	v_fma_f64 v[232:233], v[36:37], s[0:1], -v[214:215]
	v_fma_f64 v[200:201], v[30:31], s[6:7], v[220:221]
	v_add_f64 v[68:69], v[68:69], v[94:95]
	v_fma_f64 v[94:95], v[36:37], s[14:15], -v[38:39]
	v_fma_f64 v[38:39], v[36:37], s[14:15], v[38:39]
	v_fma_f64 v[72:73], v[26:27], s[0:1], -v[24:25]
	v_fma_f64 v[198:199], v[26:27], s[0:1], v[24:25]
	v_fma_f64 v[36:37], v[36:37], s[20:21], -v[230:231]
	v_add_f64 v[204:205], v[232:233], v[204:205]
	v_add_f64 v[34:35], v[34:35], v[68:69]
	;; [unrolled: 1-line block ×3, first 2 shown]
	v_mul_f64 v[94:95], v[32:33], s[22:23]
	v_add_f64 v[38:39], v[38:39], v[74:75]
	v_fma_f64 v[74:75], v[26:27], s[28:29], -v[100:101]
	v_fma_f64 v[110:111], v[26:27], s[6:7], -v[218:219]
	v_fma_f64 v[100:101], v[26:27], s[28:29], v[100:101]
	v_mul_f64 v[32:33], v[32:33], s[30:31]
	v_add_f64 v[36:37], v[36:37], v[70:71]
	v_add_f64 v[70:71], v[102:103], v[98:99]
	;; [unrolled: 1-line block ×3, first 2 shown]
	v_fma_f64 v[202:203], v[30:31], s[20:21], -v[94:95]
	v_fma_f64 v[68:69], v[30:31], s[20:21], v[94:95]
	v_fma_f64 v[94:95], v[30:31], s[0:1], v[40:41]
	v_add_f64 v[26:27], v[74:75], v[194:195]
	v_add_f64 v[74:75], v[72:73], v[28:29]
	v_fma_f64 v[24:25], v[30:31], s[28:29], v[32:33]
	v_fma_f64 v[40:41], v[30:31], s[0:1], -v[40:41]
	v_fma_f64 v[32:33], v[30:31], s[28:29], -v[32:33]
	v_add_f64 v[30:31], v[110:111], v[92:93]
	v_add_f64 v[28:29], v[200:201], v[96:97]
	;; [unrolled: 1-line block ×7, first 2 shown]
	buffer_load_dword v3, off, s[40:43], 0 offset:244 ; 4-byte Folded Reload
	v_add_f64 v[24:25], v[24:25], v[192:193]
	v_add_f64 v[96:97], v[40:41], v[108:109]
	;; [unrolled: 1-line block ×3, first 2 shown]
	s_waitcnt vmcnt(0)
	v_lshlrev_b32_e32 v3, 4, v3
	ds_write_b128 v3, v[8:11]
	ds_write_b128 v3, v[24:27] offset:16
	ds_write_b128 v3, v[72:75] offset:32
	;; [unrolled: 1-line block ×10, first 2 shown]
.LBB0_13:
	s_or_b32 exec_lo, exec_lo, s33
	s_waitcnt lgkmcnt(0)
	s_barrier
	buffer_gl0_inv
	ds_read_b128 v[8:11], v6 offset:5280
	ds_read_b128 v[12:15], v6 offset:6160
	s_mov_b32 s6, 0x134454ff
	s_mov_b32 s7, 0xbfee6f0e
	;; [unrolled: 1-line block ×10, first 2 shown]
	s_waitcnt lgkmcnt(1)
	v_mul_f64 v[3:4], v[90:91], v[10:11]
	v_fma_f64 v[68:69], v[88:89], v[8:9], v[3:4]
	v_mul_f64 v[3:4], v[90:91], v[8:9]
	v_fma_f64 v[70:71], v[88:89], v[10:11], -v[3:4]
	ds_read_b128 v[8:11], v6 offset:7920
	ds_read_b128 v[16:19], v6 offset:7040
	s_waitcnt lgkmcnt(1)
	v_mul_f64 v[3:4], v[78:79], v[10:11]
	v_fma_f64 v[3:4], v[76:77], v[8:9], v[3:4]
	v_mul_f64 v[8:9], v[78:79], v[8:9]
	v_add_f64 v[100:101], v[68:69], -v[3:4]
	v_fma_f64 v[32:33], v[76:77], v[10:11], -v[8:9]
	ds_read_b128 v[8:11], v6 offset:2640
	ds_read_b128 v[20:23], v6 offset:1760
	s_waitcnt lgkmcnt(1)
	v_mul_f64 v[24:25], v[46:47], v[10:11]
	v_fma_f64 v[34:35], v[44:45], v[8:9], v[24:25]
	v_mul_f64 v[8:9], v[46:47], v[8:9]
	v_fma_f64 v[36:37], v[44:45], v[10:11], -v[8:9]
	ds_read_b128 v[8:11], v6 offset:10560
	ds_read_b128 v[24:27], v6 offset:11440
	s_waitcnt lgkmcnt(1)
	v_mul_f64 v[28:29], v[54:55], v[10:11]
	v_fma_f64 v[38:39], v[52:53], v[8:9], v[28:29]
	v_mul_f64 v[8:9], v[54:55], v[8:9]
	v_add_f64 v[102:103], v[34:35], -v[38:39]
	v_fma_f64 v[40:41], v[52:53], v[10:11], -v[8:9]
	ds_read_b128 v[8:11], v6 offset:3520
	ds_read_b128 v[28:31], v6 offset:4400
	s_waitcnt lgkmcnt(1)
	v_mul_f64 v[44:45], v[58:59], v[10:11]
	v_add_f64 v[46:47], v[36:37], -v[40:41]
	v_fma_f64 v[52:53], v[56:57], v[8:9], v[44:45]
	v_mul_f64 v[8:9], v[58:59], v[8:9]
	v_fma_f64 v[54:55], v[56:57], v[10:11], -v[8:9]
	v_mul_f64 v[8:9], v[50:51], v[14:15]
	v_fma_f64 v[56:57], v[48:49], v[12:13], v[8:9]
	v_mul_f64 v[8:9], v[50:51], v[12:13]
	v_fma_f64 v[48:49], v[48:49], v[14:15], -v[8:9]
	ds_read_b128 v[8:11], v6 offset:8800
	ds_read_b128 v[12:15], v6 offset:9680
	s_waitcnt lgkmcnt(1)
	v_mul_f64 v[44:45], v[118:119], v[10:11]
	v_fma_f64 v[50:51], v[116:117], v[8:9], v[44:45]
	v_mul_f64 v[8:9], v[118:119], v[8:9]
	v_add_f64 v[44:45], v[70:71], -v[32:33]
	v_fma_f64 v[58:59], v[116:117], v[10:11], -v[8:9]
	v_mul_f64 v[8:9], v[114:115], v[26:27]
	v_fma_f64 v[72:73], v[112:113], v[24:25], v[8:9]
	v_mul_f64 v[8:9], v[114:115], v[24:25]
	v_fma_f64 v[74:75], v[112:113], v[26:27], -v[8:9]
	v_mul_f64 v[8:9], v[130:131], v[30:31]
	v_fma_f64 v[76:77], v[128:129], v[28:29], v[8:9]
	v_mul_f64 v[8:9], v[130:131], v[28:29]
	;; [unrolled: 4-line block ×3, first 2 shown]
	v_add_f64 v[16:17], v[34:35], v[38:39]
	v_fma_f64 v[90:91], v[120:121], v[18:19], -v[8:9]
	s_waitcnt lgkmcnt(0)
	v_mul_f64 v[8:9], v[134:135], v[14:15]
	v_fma_f64 v[92:93], v[132:133], v[12:13], v[8:9]
	v_mul_f64 v[8:9], v[134:135], v[12:13]
	v_fma_f64 v[94:95], v[132:133], v[14:15], -v[8:9]
	ds_read_b128 v[8:11], v6 offset:12320
	s_waitcnt lgkmcnt(0)
	v_mul_f64 v[12:13], v[126:127], v[10:11]
	v_fma_f64 v[96:97], v[124:125], v[8:9], v[12:13]
	v_mul_f64 v[8:9], v[126:127], v[8:9]
	v_fma_f64 v[98:99], v[124:125], v[10:11], -v[8:9]
	v_add_f64 v[8:9], v[68:69], -v[34:35]
	v_add_f64 v[10:11], v[3:4], -v[38:39]
	v_add_f64 v[24:25], v[8:9], v[10:11]
	v_add_f64 v[8:9], v[70:71], -v[36:37]
	v_add_f64 v[10:11], v[32:33], -v[40:41]
	v_add_f64 v[26:27], v[8:9], v[10:11]
	ds_read_b128 v[8:11], v6
	ds_read_b128 v[12:15], v6 offset:880
	s_waitcnt lgkmcnt(0)
	s_barrier
	buffer_gl0_inv
	v_fma_f64 v[28:29], v[16:17], -0.5, v[8:9]
	v_add_f64 v[16:17], v[36:37], v[40:41]
	v_fma_f64 v[30:31], v[16:17], -0.5, v[10:11]
	v_fma_f64 v[16:17], v[44:45], s[12:13], v[28:29]
	v_fma_f64 v[28:29], v[44:45], s[6:7], v[28:29]
	;; [unrolled: 1-line block ×10, first 2 shown]
	v_add_f64 v[28:29], v[68:69], v[3:4]
	v_fma_f64 v[18:19], v[26:27], s[14:15], v[18:19]
	v_fma_f64 v[26:27], v[26:27], s[14:15], v[30:31]
	v_add_f64 v[30:31], v[70:71], v[32:33]
	v_fma_f64 v[28:29], v[28:29], -0.5, v[8:9]
	v_add_f64 v[8:9], v[8:9], v[34:35]
	v_add_f64 v[34:35], v[34:35], -v[68:69]
	v_fma_f64 v[30:31], v[30:31], -0.5, v[10:11]
	v_add_f64 v[10:11], v[10:11], v[36:37]
	v_add_f64 v[36:37], v[36:37], -v[70:71]
	v_add_f64 v[8:9], v[8:9], v[68:69]
	v_add_f64 v[10:11], v[10:11], v[70:71]
	;; [unrolled: 1-line block ×3, first 2 shown]
	v_add_f64 v[3:4], v[38:39], -v[3:4]
	v_add_f64 v[10:11], v[10:11], v[32:33]
	v_add_f64 v[32:33], v[40:41], -v[32:33]
	v_add_f64 v[8:9], v[8:9], v[38:39]
	v_fma_f64 v[38:39], v[46:47], s[6:7], v[28:29]
	v_fma_f64 v[28:29], v[46:47], s[12:13], v[28:29]
	v_add_f64 v[3:4], v[34:35], v[3:4]
	v_add_f64 v[10:11], v[10:11], v[40:41]
	v_fma_f64 v[40:41], v[102:103], s[12:13], v[30:31]
	v_fma_f64 v[30:31], v[102:103], s[6:7], v[30:31]
	v_add_f64 v[32:33], v[36:37], v[32:33]
	v_fma_f64 v[34:35], v[44:45], s[0:1], v[38:39]
	v_fma_f64 v[36:37], v[44:45], s[4:5], v[28:29]
	;; [unrolled: 1-line block ×6, first 2 shown]
	v_add_f64 v[3:4], v[56:57], -v[52:53]
	v_add_f64 v[34:35], v[52:53], -v[56:57]
	v_fma_f64 v[30:31], v[32:33], s[14:15], v[38:39]
	v_fma_f64 v[46:47], v[32:33], s[14:15], v[40:41]
	ds_write_b128 v43, v[8:11]
	ds_write_b128 v43, v[28:31] offset:176
	ds_write_b128 v43, v[16:19] offset:352
	;; [unrolled: 1-line block ×4, first 2 shown]
	v_add_f64 v[8:9], v[50:51], -v[72:73]
	v_add_f64 v[10:11], v[58:59], -v[74:75]
	;; [unrolled: 1-line block ×8, first 2 shown]
	v_add_f64 v[3:4], v[3:4], v[8:9]
	v_add_f64 v[8:9], v[48:49], -v[54:55]
	v_add_f64 v[18:19], v[8:9], v[10:11]
	v_add_f64 v[8:9], v[52:53], v[72:73]
	v_fma_f64 v[16:17], v[8:9], -0.5, v[12:13]
	v_add_f64 v[8:9], v[54:55], v[74:75]
	v_fma_f64 v[24:25], v[8:9], -0.5, v[14:15]
	v_fma_f64 v[8:9], v[26:27], s[12:13], v[16:17]
	v_fma_f64 v[16:17], v[26:27], s[6:7], v[16:17]
	v_fma_f64 v[10:11], v[30:31], s[6:7], v[24:25]
	v_fma_f64 v[24:25], v[30:31], s[12:13], v[24:25]
	v_fma_f64 v[8:9], v[28:29], s[0:1], v[8:9]
	v_fma_f64 v[16:17], v[28:29], s[4:5], v[16:17]
	v_fma_f64 v[10:11], v[32:33], s[4:5], v[10:11]
	v_fma_f64 v[24:25], v[32:33], s[0:1], v[24:25]
	v_fma_f64 v[8:9], v[3:4], s[14:15], v[8:9]
	v_fma_f64 v[16:17], v[3:4], s[14:15], v[16:17]
	v_add_f64 v[3:4], v[56:57], v[50:51]
	v_fma_f64 v[10:11], v[18:19], s[14:15], v[10:11]
	v_fma_f64 v[18:19], v[18:19], s[14:15], v[24:25]
	v_add_f64 v[24:25], v[48:49], v[58:59]
	v_fma_f64 v[3:4], v[3:4], -0.5, v[12:13]
	v_add_f64 v[12:13], v[12:13], v[52:53]
	v_fma_f64 v[24:25], v[24:25], -0.5, v[14:15]
	v_add_f64 v[14:15], v[14:15], v[54:55]
	v_fma_f64 v[36:37], v[28:29], s[6:7], v[3:4]
	v_add_f64 v[12:13], v[12:13], v[56:57]
	v_fma_f64 v[3:4], v[28:29], s[12:13], v[3:4]
	v_add_f64 v[28:29], v[54:55], -v[48:49]
	v_fma_f64 v[42:43], v[32:33], s[12:13], v[24:25]
	v_add_f64 v[14:15], v[14:15], v[48:49]
	v_fma_f64 v[24:25], v[32:33], s[6:7], v[24:25]
	v_add_f64 v[12:13], v[12:13], v[50:51]
	v_add_f64 v[32:33], v[34:35], v[38:39]
	v_fma_f64 v[34:35], v[26:27], s[0:1], v[36:37]
	v_fma_f64 v[3:4], v[26:27], s[4:5], v[3:4]
	v_add_f64 v[36:37], v[28:29], v[40:41]
	v_fma_f64 v[26:27], v[30:31], s[4:5], v[42:43]
	v_add_f64 v[14:15], v[14:15], v[58:59]
	;; [unrolled: 2-line block ×3, first 2 shown]
	v_fma_f64 v[24:25], v[32:33], s[14:15], v[34:35]
	v_fma_f64 v[28:29], v[32:33], s[14:15], v[3:4]
	v_add_f64 v[3:4], v[88:89], -v[76:77]
	v_add_f64 v[34:35], v[96:97], -v[92:93]
	v_fma_f64 v[26:27], v[36:37], s[14:15], v[26:27]
	v_add_f64 v[14:15], v[14:15], v[74:75]
	v_fma_f64 v[30:31], v[36:37], s[14:15], v[30:31]
	ds_write_b128 v5, v[12:15]
	ds_write_b128 v5, v[24:27] offset:176
	ds_write_b128 v5, v[8:11] offset:352
	ds_write_b128 v5, v[16:19] offset:528
	ds_write_b128 v5, v[28:31] offset:704
	v_add_f64 v[8:9], v[92:93], -v[96:97]
	v_add_f64 v[10:11], v[94:95], -v[98:99]
	;; [unrolled: 1-line block ×7, first 2 shown]
	v_add_f64 v[3:4], v[3:4], v[8:9]
	v_add_f64 v[8:9], v[90:91], -v[78:79]
	v_add_f64 v[14:15], v[8:9], v[10:11]
	v_add_f64 v[8:9], v[76:77], v[96:97]
	v_fma_f64 v[12:13], v[8:9], -0.5, v[20:21]
	v_add_f64 v[8:9], v[78:79], v[98:99]
	v_fma_f64 v[16:17], v[8:9], -0.5, v[22:23]
	v_fma_f64 v[8:9], v[24:25], s[12:13], v[12:13]
	v_fma_f64 v[12:13], v[24:25], s[6:7], v[12:13]
	;; [unrolled: 1-line block ×10, first 2 shown]
	v_add_f64 v[3:4], v[88:89], v[92:93]
	v_fma_f64 v[10:11], v[14:15], s[14:15], v[10:11]
	v_fma_f64 v[14:15], v[14:15], s[14:15], v[16:17]
	v_add_f64 v[16:17], v[90:91], v[94:95]
	v_fma_f64 v[3:4], v[3:4], -0.5, v[20:21]
	v_fma_f64 v[30:31], v[16:17], -0.5, v[22:23]
	v_add_f64 v[16:17], v[20:21], v[76:77]
	v_add_f64 v[20:21], v[22:23], v[78:79]
	v_fma_f64 v[32:33], v[18:19], s[6:7], v[3:4]
	v_fma_f64 v[3:4], v[18:19], s[12:13], v[3:4]
	v_add_f64 v[22:23], v[76:77], -v[88:89]
	v_fma_f64 v[38:39], v[28:29], s[12:13], v[30:31]
	v_add_f64 v[16:17], v[16:17], v[88:89]
	v_add_f64 v[18:19], v[20:21], v[90:91]
	v_add_f64 v[20:21], v[78:79], -v[90:91]
	v_fma_f64 v[28:29], v[28:29], s[6:7], v[30:31]
	v_add_f64 v[30:31], v[22:23], v[34:35]
	v_fma_f64 v[22:23], v[24:25], s[0:1], v[32:33]
	v_fma_f64 v[3:4], v[24:25], s[4:5], v[3:4]
	;; [unrolled: 1-line block ×3, first 2 shown]
	v_add_f64 v[16:17], v[16:17], v[92:93]
	v_add_f64 v[18:19], v[18:19], v[94:95]
	;; [unrolled: 1-line block ×3, first 2 shown]
	v_fma_f64 v[26:27], v[26:27], s[0:1], v[28:29]
	v_fma_f64 v[20:21], v[30:31], s[14:15], v[22:23]
	v_add_f64 v[16:17], v[16:17], v[96:97]
	v_add_f64 v[18:19], v[18:19], v[98:99]
	v_fma_f64 v[22:23], v[32:33], s[14:15], v[24:25]
	v_fma_f64 v[24:25], v[30:31], s[14:15], v[3:4]
	;; [unrolled: 1-line block ×3, first 2 shown]
	ds_write_b128 v7, v[16:19]
	ds_write_b128 v7, v[20:23] offset:176
	ds_write_b128 v7, v[8:11] offset:352
	;; [unrolled: 1-line block ×4, first 2 shown]
	s_waitcnt lgkmcnt(0)
	s_barrier
	buffer_gl0_inv
	ds_read_b128 v[44:47], v6 offset:2640
	ds_read_b128 v[7:10], v6 offset:1760
	s_waitcnt lgkmcnt(1)
	v_mul_f64 v[11:12], v[66:67], v[44:45]
	v_mul_f64 v[3:4], v[66:67], v[46:47]
	v_fma_f64 v[31:32], v[64:65], v[46:47], -v[11:12]
	ds_read_b128 v[11:14], v6 offset:3520
	ds_read_b128 v[15:18], v6 offset:4400
	v_fma_f64 v[3:4], v[64:65], v[44:45], v[3:4]
	s_waitcnt lgkmcnt(1)
	v_mul_f64 v[19:20], v[66:67], v[13:14]
	v_fma_f64 v[33:34], v[64:65], v[11:12], v[19:20]
	v_mul_f64 v[11:12], v[66:67], v[11:12]
	v_fma_f64 v[35:36], v[64:65], v[13:14], -v[11:12]
	ds_read_b128 v[11:14], v6 offset:5280
	ds_read_b128 v[19:22], v6 offset:6160
	s_waitcnt lgkmcnt(1)
	v_mul_f64 v[23:24], v[62:63], v[13:14]
	v_fma_f64 v[37:38], v[60:61], v[11:12], v[23:24]
	v_mul_f64 v[11:12], v[62:63], v[11:12]
	v_fma_f64 v[39:40], v[60:61], v[13:14], -v[11:12]
	s_waitcnt lgkmcnt(0)
	v_mul_f64 v[11:12], v[62:63], v[21:22]
	v_fma_f64 v[41:42], v[60:61], v[19:20], v[11:12]
	v_mul_f64 v[11:12], v[62:63], v[19:20]
	v_fma_f64 v[56:57], v[60:61], v[21:22], -v[11:12]
	ds_read_b128 v[11:14], v6 offset:7920
	ds_read_b128 v[19:22], v6 offset:7040
	s_waitcnt lgkmcnt(1)
	v_mul_f64 v[23:24], v[142:143], v[13:14]
	v_fma_f64 v[43:44], v[140:141], v[11:12], v[23:24]
	v_mul_f64 v[11:12], v[142:143], v[11:12]
	v_add_f64 v[68:69], v[37:38], -v[43:44]
	v_fma_f64 v[45:46], v[140:141], v[13:14], -v[11:12]
	ds_read_b128 v[11:14], v6 offset:8800
	ds_read_b128 v[23:26], v6 offset:9680
	s_waitcnt lgkmcnt(1)
	v_mul_f64 v[27:28], v[142:143], v[13:14]
	v_add_f64 v[53:54], v[39:40], -v[45:46]
	v_fma_f64 v[58:59], v[140:141], v[11:12], v[27:28]
	v_mul_f64 v[11:12], v[142:143], v[11:12]
	v_add_f64 v[96:97], v[41:42], -v[58:59]
	v_fma_f64 v[60:61], v[140:141], v[13:14], -v[11:12]
	ds_read_b128 v[11:14], v6 offset:10560
	ds_read_b128 v[27:30], v6 offset:11440
	s_waitcnt lgkmcnt(1)
	v_mul_f64 v[47:48], v[138:139], v[13:14]
	v_fma_f64 v[47:48], v[136:137], v[11:12], v[47:48]
	v_mul_f64 v[11:12], v[138:139], v[11:12]
	v_add_f64 v[66:67], v[3:4], -v[47:48]
	v_fma_f64 v[49:50], v[136:137], v[13:14], -v[11:12]
	s_waitcnt lgkmcnt(0)
	v_mul_f64 v[11:12], v[138:139], v[29:30]
	v_add_f64 v[51:52], v[31:32], -v[49:50]
	v_fma_f64 v[62:63], v[136:137], v[27:28], v[11:12]
	v_mul_f64 v[11:12], v[138:139], v[27:28]
	v_add_f64 v[70:71], v[33:34], -v[62:63]
	v_fma_f64 v[64:65], v[136:137], v[29:30], -v[11:12]
	v_mul_f64 v[11:12], v[154:155], v[17:18]
	v_fma_f64 v[72:73], v[152:153], v[15:16], v[11:12]
	v_mul_f64 v[11:12], v[154:155], v[15:16]
	v_fma_f64 v[74:75], v[152:153], v[17:18], -v[11:12]
	v_mul_f64 v[11:12], v[146:147], v[21:22]
	v_fma_f64 v[76:77], v[144:145], v[19:20], v[11:12]
	v_mul_f64 v[11:12], v[146:147], v[19:20]
	v_add_f64 v[19:20], v[37:38], v[43:44]
	v_fma_f64 v[78:79], v[144:145], v[21:22], -v[11:12]
	v_mul_f64 v[11:12], v[158:159], v[25:26]
	v_fma_f64 v[88:89], v[156:157], v[23:24], v[11:12]
	v_mul_f64 v[11:12], v[158:159], v[23:24]
	v_fma_f64 v[90:91], v[156:157], v[25:26], -v[11:12]
	ds_read_b128 v[11:14], v6 offset:12320
	s_waitcnt lgkmcnt(0)
	v_mul_f64 v[15:16], v[150:151], v[13:14]
	v_fma_f64 v[92:93], v[148:149], v[11:12], v[15:16]
	v_mul_f64 v[11:12], v[150:151], v[11:12]
	v_add_f64 v[98:99], v[72:73], -v[92:93]
	v_fma_f64 v[94:95], v[148:149], v[13:14], -v[11:12]
	v_add_f64 v[11:12], v[3:4], -v[37:38]
	v_add_f64 v[13:14], v[47:48], -v[43:44]
	v_add_f64 v[23:24], v[11:12], v[13:14]
	v_add_f64 v[11:12], v[31:32], -v[39:40]
	v_add_f64 v[13:14], v[49:50], -v[45:46]
	v_add_f64 v[25:26], v[11:12], v[13:14]
	ds_read_b128 v[11:14], v6
	ds_read_b128 v[15:18], v6 offset:880
	s_waitcnt lgkmcnt(0)
	s_barrier
	buffer_gl0_inv
	v_fma_f64 v[27:28], v[19:20], -0.5, v[11:12]
	v_add_f64 v[19:20], v[39:40], v[45:46]
	v_fma_f64 v[29:30], v[19:20], -0.5, v[13:14]
	v_fma_f64 v[19:20], v[51:52], s[6:7], v[27:28]
	v_fma_f64 v[27:28], v[51:52], s[12:13], v[27:28]
	v_fma_f64 v[21:22], v[66:67], s[12:13], v[29:30]
	v_fma_f64 v[29:30], v[66:67], s[6:7], v[29:30]
	v_fma_f64 v[19:20], v[53:54], s[0:1], v[19:20]
	v_fma_f64 v[27:28], v[53:54], s[4:5], v[27:28]
	v_fma_f64 v[21:22], v[68:69], s[4:5], v[21:22]
	v_fma_f64 v[29:30], v[68:69], s[0:1], v[29:30]
	v_fma_f64 v[19:20], v[23:24], s[14:15], v[19:20]
	v_fma_f64 v[23:24], v[23:24], s[14:15], v[27:28]
	v_add_f64 v[27:28], v[3:4], v[47:48]
	v_fma_f64 v[21:22], v[25:26], s[14:15], v[21:22]
	v_fma_f64 v[25:26], v[25:26], s[14:15], v[29:30]
	v_add_f64 v[29:30], v[31:32], v[49:50]
	v_fma_f64 v[27:28], v[27:28], -0.5, v[11:12]
	v_add_f64 v[11:12], v[11:12], v[3:4]
	v_add_f64 v[3:4], v[37:38], -v[3:4]
	v_fma_f64 v[29:30], v[29:30], -0.5, v[13:14]
	v_add_f64 v[13:14], v[13:14], v[31:32]
	v_add_f64 v[31:32], v[39:40], -v[31:32]
	v_add_f64 v[11:12], v[11:12], v[37:38]
	v_fma_f64 v[37:38], v[53:54], s[12:13], v[27:28]
	v_fma_f64 v[27:28], v[53:54], s[6:7], v[27:28]
	v_add_f64 v[13:14], v[13:14], v[39:40]
	v_add_f64 v[39:40], v[43:44], -v[47:48]
	v_add_f64 v[11:12], v[11:12], v[43:44]
	v_add_f64 v[43:44], v[45:46], -v[49:50]
	v_fma_f64 v[37:38], v[51:52], s[0:1], v[37:38]
	v_add_f64 v[13:14], v[13:14], v[45:46]
	v_fma_f64 v[45:46], v[68:69], s[6:7], v[29:30]
	v_fma_f64 v[29:30], v[68:69], s[12:13], v[29:30]
	v_add_f64 v[11:12], v[11:12], v[47:48]
	v_add_f64 v[3:4], v[3:4], v[39:40]
	v_fma_f64 v[39:40], v[51:52], s[4:5], v[27:28]
	v_add_f64 v[31:32], v[31:32], v[43:44]
	v_add_f64 v[68:69], v[56:57], -v[60:61]
	v_add_f64 v[13:14], v[13:14], v[49:50]
	v_fma_f64 v[43:44], v[66:67], s[4:5], v[45:46]
	v_fma_f64 v[46:47], v[66:67], s[0:1], v[29:30]
	v_add_f64 v[66:67], v[35:36], -v[64:65]
	v_fma_f64 v[27:28], v[3:4], s[14:15], v[37:38]
	v_add_f64 v[37:38], v[64:65], -v[60:61]
	v_fma_f64 v[29:30], v[31:32], s[14:15], v[43:44]
	v_fma_f64 v[44:45], v[3:4], s[14:15], v[39:40]
	v_fma_f64 v[46:47], v[31:32], s[14:15], v[46:47]
	v_add_f64 v[3:4], v[33:34], -v[41:42]
	v_add_f64 v[31:32], v[62:63], -v[58:59]
	v_add_f64 v[39:40], v[56:57], v[60:61]
	v_add_f64 v[3:4], v[3:4], v[31:32]
	v_add_f64 v[31:32], v[35:36], -v[56:57]
	v_fma_f64 v[39:40], v[39:40], -0.5, v[17:18]
	v_add_f64 v[31:32], v[31:32], v[37:38]
	v_add_f64 v[37:38], v[41:42], v[58:59]
	v_fma_f64 v[50:51], v[70:71], s[12:13], v[39:40]
	v_fma_f64 v[39:40], v[70:71], s[6:7], v[39:40]
	v_fma_f64 v[37:38], v[37:38], -0.5, v[15:16]
	v_fma_f64 v[50:51], v[96:97], s[4:5], v[50:51]
	v_fma_f64 v[39:40], v[96:97], s[0:1], v[39:40]
	;; [unrolled: 1-line block ×6, first 2 shown]
	v_add_f64 v[31:32], v[35:36], v[64:65]
	v_add_f64 v[39:40], v[58:59], -v[62:63]
	v_fma_f64 v[48:49], v[68:69], s[0:1], v[48:49]
	v_fma_f64 v[37:38], v[68:69], s[4:5], v[37:38]
	v_fma_f64 v[31:32], v[31:32], -0.5, v[17:18]
	v_add_f64 v[17:18], v[17:18], v[35:36]
	v_add_f64 v[35:36], v[56:57], -v[35:36]
	v_fma_f64 v[48:49], v[3:4], s[14:15], v[48:49]
	v_fma_f64 v[52:53], v[3:4], s[14:15], v[37:38]
	v_add_f64 v[3:4], v[33:34], v[62:63]
	v_add_f64 v[17:18], v[17:18], v[56:57]
	v_fma_f64 v[56:57], v[96:97], s[6:7], v[31:32]
	v_fma_f64 v[31:32], v[96:97], s[12:13], v[31:32]
	v_add_f64 v[96:97], v[76:77], -v[88:89]
	v_fma_f64 v[3:4], v[3:4], -0.5, v[15:16]
	v_add_f64 v[15:16], v[15:16], v[33:34]
	v_add_f64 v[33:34], v[41:42], -v[33:34]
	v_add_f64 v[17:18], v[17:18], v[60:61]
	v_fma_f64 v[31:32], v[70:71], s[0:1], v[31:32]
	v_fma_f64 v[37:38], v[68:69], s[12:13], v[3:4]
	v_add_f64 v[15:16], v[15:16], v[41:42]
	v_fma_f64 v[3:4], v[68:69], s[6:7], v[3:4]
	v_add_f64 v[41:42], v[60:61], -v[64:65]
	v_add_f64 v[33:34], v[33:34], v[39:40]
	v_fma_f64 v[39:40], v[70:71], s[4:5], v[56:57]
	v_add_f64 v[17:18], v[17:18], v[64:65]
	v_fma_f64 v[37:38], v[66:67], s[0:1], v[37:38]
	;; [unrolled: 2-line block ×5, first 2 shown]
	v_fma_f64 v[62:63], v[35:36], s[14:15], v[31:32]
	v_add_f64 v[3:4], v[76:77], -v[72:73]
	v_add_f64 v[31:32], v[88:89], -v[92:93]
	;; [unrolled: 1-line block ×3, first 2 shown]
	v_fma_f64 v[58:59], v[35:36], s[14:15], v[39:40]
	v_add_f64 v[35:36], v[74:75], v[94:95]
	v_add_f64 v[37:38], v[78:79], -v[90:91]
	v_add_f64 v[39:40], v[74:75], -v[94:95]
	v_add_f64 v[3:4], v[3:4], v[31:32]
	v_add_f64 v[31:32], v[78:79], -v[74:75]
	v_fma_f64 v[35:36], v[35:36], -0.5, v[9:10]
	v_add_f64 v[31:32], v[31:32], v[33:34]
	v_add_f64 v[33:34], v[72:73], v[92:93]
	v_fma_f64 v[64:65], v[96:97], s[6:7], v[35:36]
	v_fma_f64 v[35:36], v[96:97], s[12:13], v[35:36]
	v_fma_f64 v[33:34], v[33:34], -0.5, v[7:8]
	v_fma_f64 v[66:67], v[98:99], s[4:5], v[64:65]
	v_fma_f64 v[35:36], v[98:99], s[0:1], v[35:36]
	;; [unrolled: 1-line block ×6, first 2 shown]
	v_add_f64 v[31:32], v[78:79], v[90:91]
	v_fma_f64 v[41:42], v[39:40], s[0:1], v[41:42]
	v_fma_f64 v[33:34], v[39:40], s[4:5], v[33:34]
	v_fma_f64 v[31:32], v[31:32], -0.5, v[9:10]
	v_add_f64 v[9:10], v[9:10], v[74:75]
	v_fma_f64 v[64:65], v[3:4], s[14:15], v[41:42]
	v_fma_f64 v[68:69], v[3:4], s[14:15], v[33:34]
	v_add_f64 v[3:4], v[76:77], v[88:89]
	v_add_f64 v[33:34], v[72:73], -v[76:77]
	v_add_f64 v[41:42], v[92:93], -v[88:89]
	v_add_f64 v[9:10], v[9:10], v[78:79]
	v_fma_f64 v[3:4], v[3:4], -0.5, v[7:8]
	v_add_f64 v[7:8], v[7:8], v[72:73]
	v_add_f64 v[72:73], v[94:95], -v[90:91]
	v_add_f64 v[9:10], v[9:10], v[90:91]
	v_add_f64 v[33:34], v[33:34], v[41:42]
	v_fma_f64 v[35:36], v[39:40], s[6:7], v[3:4]
	v_add_f64 v[7:8], v[7:8], v[76:77]
	v_fma_f64 v[3:4], v[39:40], s[12:13], v[3:4]
	v_add_f64 v[39:40], v[74:75], -v[78:79]
	v_fma_f64 v[74:75], v[98:99], s[12:13], v[31:32]
	v_fma_f64 v[31:32], v[98:99], s[6:7], v[31:32]
	v_add_f64 v[9:10], v[9:10], v[94:95]
	v_fma_f64 v[35:36], v[37:38], s[0:1], v[35:36]
	v_add_f64 v[7:8], v[7:8], v[88:89]
	;; [unrolled: 2-line block ×3, first 2 shown]
	v_fma_f64 v[39:40], v[96:97], s[4:5], v[74:75]
	v_fma_f64 v[31:32], v[96:97], s[0:1], v[31:32]
	s_mov_b32 s0, 0xe8584caa
	s_mov_b32 s1, 0xbfebb67a
	;; [unrolled: 1-line block ×4, first 2 shown]
	v_fma_f64 v[72:73], v[33:34], s[14:15], v[35:36]
	v_add_f64 v[7:8], v[7:8], v[92:93]
	v_fma_f64 v[76:77], v[33:34], s[14:15], v[3:4]
	v_fma_f64 v[74:75], v[37:38], s[14:15], v[39:40]
	;; [unrolled: 1-line block ×3, first 2 shown]
	ds_write_b128 v6, v[11:14]
	ds_write_b128 v6, v[19:22] offset:880
	ds_write_b128 v6, v[27:30] offset:1760
	;; [unrolled: 1-line block ×14, first 2 shown]
	s_waitcnt lgkmcnt(0)
	s_barrier
	buffer_gl0_inv
	ds_read_b128 v[2:5], v6 offset:4400
	ds_read_b128 v[7:10], v6 offset:3520
	s_waitcnt lgkmcnt(1)
	v_mul_f64 v[11:12], v[86:87], v[4:5]
	v_fma_f64 v[19:20], v[84:85], v[2:3], v[11:12]
	v_mul_f64 v[2:3], v[86:87], v[2:3]
	v_fma_f64 v[21:22], v[84:85], v[4:5], -v[2:3]
	ds_read_b128 v[2:5], v6 offset:8800
	ds_read_b128 v[11:14], v6 offset:9680
	s_waitcnt lgkmcnt(1)
	v_mul_f64 v[15:16], v[82:83], v[4:5]
	v_fma_f64 v[23:24], v[80:81], v[2:3], v[15:16]
	v_mul_f64 v[2:3], v[82:83], v[2:3]
	v_fma_f64 v[25:26], v[80:81], v[4:5], -v[2:3]
	;; [unrolled: 7-line block ×3, first 2 shown]
	v_mul_f64 v[2:3], v[162:163], v[13:14]
	v_fma_f64 v[31:32], v[160:161], v[11:12], v[2:3]
	v_mul_f64 v[2:3], v[162:163], v[11:12]
	v_fma_f64 v[33:34], v[160:161], v[13:14], -v[2:3]
	s_waitcnt lgkmcnt(0)
	v_mul_f64 v[2:3], v[174:175], v[17:18]
	v_fma_f64 v[35:36], v[172:173], v[15:16], v[2:3]
	v_mul_f64 v[2:3], v[174:175], v[15:16]
	v_fma_f64 v[37:38], v[172:173], v[17:18], -v[2:3]
	ds_read_b128 v[2:5], v6 offset:10560
	ds_read_b128 v[11:14], v6 offset:11440
	s_waitcnt lgkmcnt(1)
	v_mul_f64 v[15:16], v[170:171], v[4:5]
	v_fma_f64 v[39:40], v[168:169], v[2:3], v[15:16]
	v_mul_f64 v[2:3], v[170:171], v[2:3]
	v_fma_f64 v[41:42], v[168:169], v[4:5], -v[2:3]
	ds_read_b128 v[2:5], v6 offset:7040
	ds_read_b128 v[15:18], v6 offset:7920
	s_waitcnt lgkmcnt(1)
	v_mul_f64 v[43:44], v[182:183], v[4:5]
	v_fma_f64 v[60:61], v[180:181], v[2:3], v[43:44]
	v_mul_f64 v[2:3], v[182:183], v[2:3]
	v_fma_f64 v[62:63], v[180:181], v[4:5], -v[2:3]
	v_mul_f64 v[2:3], v[178:179], v[13:14]
	v_fma_f64 v[64:65], v[176:177], v[11:12], v[2:3]
	v_mul_f64 v[2:3], v[178:179], v[11:12]
	v_fma_f64 v[66:67], v[176:177], v[13:14], -v[2:3]
	s_waitcnt lgkmcnt(0)
	v_mul_f64 v[2:3], v[190:191], v[17:18]
	v_fma_f64 v[68:69], v[188:189], v[15:16], v[2:3]
	v_mul_f64 v[2:3], v[190:191], v[15:16]
	v_add_f64 v[15:16], v[19:20], v[23:24]
	v_fma_f64 v[70:71], v[188:189], v[17:18], -v[2:3]
	ds_read_b128 v[2:5], v6 offset:12320
	s_waitcnt lgkmcnt(0)
	v_mul_f64 v[11:12], v[186:187], v[4:5]
	v_fma_f64 v[72:73], v[184:185], v[2:3], v[11:12]
	v_mul_f64 v[2:3], v[186:187], v[2:3]
	v_fma_f64 v[74:75], v[184:185], v[4:5], -v[2:3]
	ds_read_b128 v[2:5], v6
	ds_read_b128 v[11:14], v6 offset:880
	s_waitcnt lgkmcnt(1)
	v_fma_f64 v[17:18], v[15:16], -0.5, v[2:3]
	v_add_f64 v[15:16], v[21:22], v[25:26]
	v_add_f64 v[2:3], v[2:3], v[19:20]
	v_fma_f64 v[43:44], v[15:16], -0.5, v[4:5]
	v_add_f64 v[4:5], v[4:5], v[21:22]
	v_add_f64 v[21:22], v[21:22], -v[25:26]
	v_add_f64 v[2:3], v[2:3], v[23:24]
	v_add_f64 v[23:24], v[19:20], -v[23:24]
	v_add_f64 v[4:5], v[4:5], v[25:26]
	v_fma_f64 v[15:16], v[21:22], s[0:1], v[17:18]
	v_fma_f64 v[19:20], v[21:22], s[4:5], v[17:18]
	v_fma_f64 v[17:18], v[23:24], s[4:5], v[43:44]
	v_fma_f64 v[21:22], v[23:24], s[0:1], v[43:44]
	v_add_f64 v[23:24], v[27:28], v[31:32]
	s_waitcnt lgkmcnt(0)
	v_fma_f64 v[25:26], v[23:24], -0.5, v[11:12]
	v_add_f64 v[23:24], v[29:30], v[33:34]
	v_add_f64 v[11:12], v[11:12], v[27:28]
	v_fma_f64 v[43:44], v[23:24], -0.5, v[13:14]
	v_add_f64 v[13:14], v[13:14], v[29:30]
	v_add_f64 v[29:30], v[29:30], -v[33:34]
	v_add_f64 v[11:12], v[11:12], v[31:32]
	v_add_f64 v[31:32], v[27:28], -v[31:32]
	v_add_f64 v[13:14], v[13:14], v[33:34]
	v_fma_f64 v[23:24], v[29:30], s[0:1], v[25:26]
	v_fma_f64 v[27:28], v[29:30], s[4:5], v[25:26]
	;; [unrolled: 1-line block ×4, first 2 shown]
	v_add_f64 v[31:32], v[35:36], v[39:40]
	v_add_f64 v[33:34], v[37:38], v[41:42]
	ds_read_b128 v[44:47], v6 offset:1760
	ds_read_b128 v[48:51], v6 offset:2640
	s_waitcnt lgkmcnt(1)
	v_fma_f64 v[31:32], v[31:32], -0.5, v[44:45]
	v_fma_f64 v[33:34], v[33:34], -0.5, v[46:47]
	v_add_f64 v[46:47], v[46:47], v[37:38]
	v_add_f64 v[43:44], v[44:45], v[35:36]
	v_add_f64 v[37:38], v[37:38], -v[41:42]
	v_add_f64 v[35:36], v[35:36], -v[39:40]
	v_add_f64 v[46:47], v[46:47], v[41:42]
	v_add_f64 v[44:45], v[43:44], v[39:40]
	v_fma_f64 v[52:53], v[37:38], s[0:1], v[31:32]
	v_fma_f64 v[56:57], v[37:38], s[4:5], v[31:32]
	;; [unrolled: 1-line block ×4, first 2 shown]
	v_add_f64 v[31:32], v[60:61], v[64:65]
	v_add_f64 v[33:34], v[62:63], v[66:67]
	s_waitcnt lgkmcnt(0)
	v_add_f64 v[35:36], v[50:51], v[62:63]
	v_add_f64 v[37:38], v[48:49], v[60:61]
	v_add_f64 v[39:40], v[62:63], -v[66:67]
	v_fma_f64 v[31:32], v[31:32], -0.5, v[48:49]
	v_fma_f64 v[33:34], v[33:34], -0.5, v[50:51]
	v_add_f64 v[50:51], v[35:36], v[66:67]
	v_add_f64 v[35:36], v[60:61], -v[64:65]
	v_add_f64 v[48:49], v[37:38], v[64:65]
	v_add_f64 v[37:38], v[68:69], -v[72:73]
	v_fma_f64 v[60:61], v[39:40], s[0:1], v[31:32]
	v_fma_f64 v[64:65], v[39:40], s[4:5], v[31:32]
	v_add_f64 v[31:32], v[68:69], v[72:73]
	v_fma_f64 v[62:63], v[35:36], s[4:5], v[33:34]
	v_fma_f64 v[66:67], v[35:36], s[0:1], v[33:34]
	v_add_f64 v[33:34], v[70:71], v[74:75]
	v_add_f64 v[35:36], v[70:71], -v[74:75]
	v_fma_f64 v[31:32], v[31:32], -0.5, v[7:8]
	v_add_f64 v[7:8], v[7:8], v[68:69]
	v_fma_f64 v[33:34], v[33:34], -0.5, v[9:10]
	v_add_f64 v[9:10], v[9:10], v[70:71]
	v_fma_f64 v[68:69], v[35:36], s[0:1], v[31:32]
	v_add_f64 v[7:8], v[7:8], v[72:73]
	v_fma_f64 v[72:73], v[35:36], s[4:5], v[31:32]
	v_fma_f64 v[70:71], v[37:38], s[4:5], v[33:34]
	v_add_f64 v[9:10], v[9:10], v[74:75]
	v_fma_f64 v[74:75], v[37:38], s[0:1], v[33:34]
	ds_write_b128 v6, v[2:5]
	ds_write_b128 v6, v[15:18] offset:4400
	ds_write_b128 v6, v[19:22] offset:8800
	;; [unrolled: 1-line block ×14, first 2 shown]
	s_waitcnt lgkmcnt(0)
	s_barrier
	buffer_gl0_inv
	ds_read_b128 v[2:5], v6
	ds_read_b128 v[7:10], v6 offset:1200
	s_clause 0x3
	buffer_load_dword v29, off, s[40:43], 0 offset:116
	buffer_load_dword v30, off, s[40:43], 0 offset:120
	;; [unrolled: 1-line block ×4, first 2 shown]
	ds_read_b128 v[11:14], v6 offset:2400
	s_clause 0x6
	buffer_load_dword v19, off, s[40:43], 0 offset:56
	buffer_load_dword v20, off, s[40:43], 0 offset:60
	;; [unrolled: 1-line block ×7, first 2 shown]
	s_mov_b32 s4, 0x3dc013dc
	s_mov_b32 s5, 0x3f53dc01
	s_mul_hi_u32 s1, s8, 0x4b
	s_waitcnt vmcnt(7) lgkmcnt(2)
	v_mul_f64 v[15:16], v[31:32], v[4:5]
	v_mul_f64 v[17:18], v[31:32], v[2:3]
	s_waitcnt vmcnt(6)
	v_mov_b32_e32 v31, v19
	s_waitcnt vmcnt(4)
	v_mad_u64_u32 v[23:24], null, s8, v35, 0
	s_waitcnt vmcnt(0) lgkmcnt(1)
	v_mul_f64 v[25:26], v[39:40], v[9:10]
	v_mul_f64 v[27:28], v[39:40], v[7:8]
	v_mad_u64_u32 v[19:20], null, s10, v31, 0
	v_fma_f64 v[21:22], v[29:30], v[2:3], v[15:16]
	v_fma_f64 v[29:30], v[29:30], v[4:5], -v[17:18]
	ds_read_b128 v[2:5], v6 offset:3600
	s_clause 0x3
	buffer_load_dword v41, off, s[40:43], 0 offset:228
	buffer_load_dword v42, off, s[40:43], 0 offset:232
	;; [unrolled: 1-line block ×4, first 2 shown]
	v_mov_b32_e32 v15, v20
	v_mov_b32_e32 v16, v24
	v_fma_f64 v[25:26], v[37:38], v[7:8], v[25:26]
	v_fma_f64 v[27:28], v[37:38], v[9:10], -v[27:28]
	v_mad_u64_u32 v[17:18], null, s11, v31, v[15:16]
	v_mad_u64_u32 v[35:36], null, s9, v35, v[16:17]
	v_mov_b32_e32 v20, v17
	ds_read_b128 v[15:18], v6 offset:4800
	s_clause 0x3
	buffer_load_dword v47, off, s[40:43], 0 offset:212
	buffer_load_dword v48, off, s[40:43], 0 offset:216
	;; [unrolled: 1-line block ×4, first 2 shown]
	ds_read_b128 v[7:10], v6 offset:6000
	v_lshlrev_b64 v[39:40], 4, v[19:20]
	v_mul_f64 v[19:20], v[21:22], s[4:5]
	v_mul_f64 v[21:22], v[29:30], s[4:5]
	v_mov_b32_e32 v24, v35
	v_lshlrev_b64 v[23:24], 4, v[23:24]
	s_waitcnt vmcnt(4) lgkmcnt(3)
	v_mul_f64 v[31:32], v[43:44], v[13:14]
	v_mul_f64 v[33:34], v[43:44], v[11:12]
	s_waitcnt vmcnt(0) lgkmcnt(2)
	v_mul_f64 v[35:36], v[49:50], v[4:5]
	v_mul_f64 v[37:38], v[49:50], v[2:3]
	v_fma_f64 v[31:32], v[41:42], v[11:12], v[31:32]
	v_fma_f64 v[33:34], v[41:42], v[13:14], -v[33:34]
	ds_read_b128 v[11:14], v6 offset:7200
	s_clause 0x3
	buffer_load_dword v61, off, s[40:43], 0 offset:196
	buffer_load_dword v62, off, s[40:43], 0 offset:200
	;; [unrolled: 1-line block ×4, first 2 shown]
	v_add_co_u32 v41, s0, s2, v39
	v_add_co_ci_u32_e64 v42, s0, s3, v40, s0
	s_clause 0x3
	buffer_load_dword v57, off, s[40:43], 0 offset:132
	buffer_load_dword v58, off, s[40:43], 0 offset:136
	;; [unrolled: 1-line block ×4, first 2 shown]
	v_add_co_u32 v41, s0, v41, v23
	v_add_co_ci_u32_e64 v42, s0, v42, v24, s0
	s_mul_i32 s0, s9, 0x4b
	s_add_i32 s1, s1, s0
	global_store_dwordx4 v[41:42], v[19:22], off
	v_mul_f64 v[19:20], v[25:26], s[4:5]
	v_mul_f64 v[21:22], v[27:28], s[4:5]
	v_fma_f64 v[35:36], v[47:48], v[2:3], v[35:36]
	v_fma_f64 v[37:38], v[47:48], v[4:5], -v[37:38]
	ds_read_b128 v[2:5], v6 offset:8400
	s_clause 0x3
	buffer_load_dword v53, off, s[40:43], 0 offset:100
	buffer_load_dword v54, off, s[40:43], 0 offset:104
	;; [unrolled: 1-line block ×4, first 2 shown]
	ds_read_b128 v[23:26], v6 offset:9600
	s_mul_i32 s0, s8, 0x4b
	s_lshl_b64 s[2:3], s[0:1], 4
	s_waitcnt vmcnt(8) lgkmcnt(4)
	v_mul_f64 v[29:30], v[63:64], v[17:18]
	v_mul_f64 v[39:40], v[63:64], v[15:16]
	s_waitcnt vmcnt(4) lgkmcnt(3)
	v_mul_f64 v[43:44], v[59:60], v[9:10]
	v_mul_f64 v[45:46], v[59:60], v[7:8]
	;; [unrolled: 3-line block ×3, first 2 shown]
	v_fma_f64 v[51:52], v[61:62], v[15:16], v[29:30]
	v_fma_f64 v[39:40], v[61:62], v[17:18], -v[39:40]
	ds_read_b128 v[15:18], v6 offset:10800
	ds_read_b128 v[27:30], v6 offset:12000
	s_clause 0x7
	buffer_load_dword v61, off, s[40:43], 0 offset:84
	buffer_load_dword v62, off, s[40:43], 0 offset:88
	;; [unrolled: 1-line block ×8, first 2 shown]
	v_fma_f64 v[43:44], v[57:58], v[7:8], v[43:44]
	v_mul_f64 v[7:8], v[31:32], s[4:5]
	v_add_co_u32 v31, s0, v41, s2
	v_add_co_ci_u32_e64 v32, s0, s3, v42, s0
	v_fma_f64 v[45:46], v[57:58], v[9:10], -v[45:46]
	v_mul_f64 v[9:10], v[33:34], s[4:5]
	global_store_dwordx4 v[31:32], v[19:22], off
	v_fma_f64 v[33:34], v[53:54], v[11:12], v[47:48]
	v_fma_f64 v[41:42], v[53:54], v[13:14], -v[49:50]
	v_add_co_u32 v11, s0, v31, s2
	v_add_co_ci_u32_e64 v12, s0, s3, v32, s0
	v_mul_f64 v[13:14], v[39:40], s[4:5]
	s_waitcnt vmcnt(4) lgkmcnt(3)
	v_mul_f64 v[47:48], v[63:64], v[4:5]
	v_mul_f64 v[49:50], v[63:64], v[2:3]
	s_clause 0x3
	buffer_load_dword v63, off, s[40:43], 0 offset:148
	buffer_load_dword v64, off, s[40:43], 0 offset:152
	;; [unrolled: 1-line block ×4, first 2 shown]
	s_waitcnt vmcnt(4) lgkmcnt(2)
	v_mul_f64 v[53:54], v[69:70], v[25:26]
	v_mul_f64 v[55:56], v[69:70], v[23:24]
	s_clause 0x3
	buffer_load_dword v69, off, s[40:43], 0 offset:180
	buffer_load_dword v70, off, s[40:43], 0 offset:184
	;; [unrolled: 1-line block ×4, first 2 shown]
	global_store_dwordx4 v[11:12], v[7:10], off
	v_mul_f64 v[9:10], v[37:38], s[4:5]
	v_mul_f64 v[7:8], v[35:36], s[4:5]
	v_add_co_u32 v35, s0, v11, s2
	v_add_co_ci_u32_e64 v36, s0, s3, v12, s0
	v_mul_f64 v[11:12], v[51:52], s[4:5]
	v_fma_f64 v[31:32], v[61:62], v[2:3], v[47:48]
	v_fma_f64 v[37:38], v[61:62], v[4:5], -v[49:50]
	v_mul_f64 v[2:3], v[43:44], s[4:5]
	v_fma_f64 v[23:24], v[67:68], v[23:24], v[53:54]
	v_fma_f64 v[25:26], v[67:68], v[25:26], -v[55:56]
	v_add_co_u32 v53, s0, v35, s2
	v_add_co_ci_u32_e64 v54, s0, s3, v36, s0
	v_mul_f64 v[4:5], v[45:46], s[4:5]
	v_add_co_u32 v43, s0, v53, s2
	v_add_co_ci_u32_e64 v44, s0, s3, v54, s0
	global_store_dwordx4 v[35:36], v[7:10], off
	global_store_dwordx4 v[53:54], v[11:14], off
	v_mul_f64 v[23:24], v[23:24], s[4:5]
	v_mul_f64 v[25:26], v[25:26], s[4:5]
	global_store_dwordx4 v[43:44], v[2:5], off
	s_waitcnt vmcnt(4) lgkmcnt(1)
	v_mul_f64 v[19:20], v[65:66], v[17:18]
	v_mul_f64 v[21:22], v[65:66], v[15:16]
	s_waitcnt vmcnt(0) lgkmcnt(0)
	v_mul_f64 v[57:58], v[71:72], v[29:30]
	v_mul_f64 v[59:60], v[71:72], v[27:28]
	v_fma_f64 v[39:40], v[63:64], v[15:16], v[19:20]
	v_fma_f64 v[47:48], v[63:64], v[17:18], -v[21:22]
	v_mul_f64 v[17:18], v[41:42], s[4:5]
	v_fma_f64 v[49:50], v[69:70], v[27:28], v[57:58]
	v_fma_f64 v[51:52], v[69:70], v[29:30], -v[59:60]
	v_add_co_u32 v41, s0, v43, s2
	v_add_co_ci_u32_e64 v42, s0, s3, v44, s0
	v_mul_f64 v[15:16], v[33:34], s[4:5]
	v_mul_f64 v[21:22], v[37:38], s[4:5]
	v_add_co_u32 v37, s0, v41, s2
	v_mul_f64 v[19:20], v[31:32], s[4:5]
	v_add_co_ci_u32_e64 v38, s0, s3, v42, s0
	v_add_co_u32 v7, s0, v37, s2
	v_add_co_ci_u32_e64 v8, s0, s3, v38, s0
	v_add_co_u32 v9, s0, v7, s2
	v_mul_f64 v[27:28], v[39:40], s[4:5]
	v_mul_f64 v[29:30], v[47:48], s[4:5]
	;; [unrolled: 1-line block ×4, first 2 shown]
	v_add_co_ci_u32_e64 v10, s0, s3, v8, s0
	v_add_co_u32 v4, s0, v9, s2
	v_add_co_ci_u32_e64 v5, s0, s3, v10, s0
	global_store_dwordx4 v[41:42], v[15:18], off
	global_store_dwordx4 v[37:38], v[19:22], off
	;; [unrolled: 1-line block ×5, first 2 shown]
	s_and_b32 exec_lo, exec_lo, vcc_lo
	s_cbranch_execz .LBB0_15
; %bb.14:
	global_load_dwordx4 v[0:3], v[0:1], off offset:880
	ds_read_b128 v[7:10], v6 offset:880
	ds_read_b128 v[11:14], v6 offset:2080
	v_mad_u64_u32 v[4:5], null, 0xffffd490, s8, v[4:5]
	s_mul_i32 s0, s9, 0xffffd490
	s_sub_i32 s0, s0, s8
	v_add_nc_u32_e32 v5, s0, v5
	s_waitcnt vmcnt(0) lgkmcnt(1)
	v_mul_f64 v[15:16], v[9:10], v[2:3]
	v_mul_f64 v[2:3], v[7:8], v[2:3]
	v_fma_f64 v[7:8], v[7:8], v[0:1], v[15:16]
	v_fma_f64 v[2:3], v[0:1], v[9:10], -v[2:3]
	v_mul_f64 v[0:1], v[7:8], s[4:5]
	v_mul_f64 v[2:3], v[2:3], s[4:5]
	global_store_dwordx4 v[4:5], v[0:3], off
	s_clause 0x1
	buffer_load_dword v9, off, s[40:43], 0 offset:48
	buffer_load_dword v10, off, s[40:43], 0 offset:52
	v_add_co_u32 v4, vcc_lo, v4, s2
	v_add_co_ci_u32_e32 v5, vcc_lo, s3, v5, vcc_lo
	s_waitcnt vmcnt(0)
	global_load_dwordx4 v[0:3], v[9:10], off offset:32
	s_waitcnt vmcnt(0) lgkmcnt(0)
	v_mul_f64 v[7:8], v[13:14], v[2:3]
	v_mul_f64 v[2:3], v[11:12], v[2:3]
	v_fma_f64 v[7:8], v[11:12], v[0:1], v[7:8]
	v_fma_f64 v[2:3], v[0:1], v[13:14], -v[2:3]
	v_mul_f64 v[0:1], v[7:8], s[4:5]
	v_mul_f64 v[2:3], v[2:3], s[4:5]
	global_store_dwordx4 v[4:5], v[0:3], off
	global_load_dwordx4 v[0:3], v[9:10], off offset:1232
	ds_read_b128 v[7:10], v6 offset:3280
	ds_read_b128 v[11:14], v6 offset:4480
	v_add_co_u32 v4, vcc_lo, v4, s2
	v_add_co_ci_u32_e32 v5, vcc_lo, s3, v5, vcc_lo
	s_waitcnt vmcnt(0) lgkmcnt(1)
	v_mul_f64 v[15:16], v[9:10], v[2:3]
	v_mul_f64 v[2:3], v[7:8], v[2:3]
	v_fma_f64 v[7:8], v[7:8], v[0:1], v[15:16]
	v_fma_f64 v[2:3], v[0:1], v[9:10], -v[2:3]
	v_mul_f64 v[0:1], v[7:8], s[4:5]
	v_mul_f64 v[2:3], v[2:3], s[4:5]
	global_store_dwordx4 v[4:5], v[0:3], off
	s_clause 0x1
	buffer_load_dword v9, off, s[40:43], 0 offset:40
	buffer_load_dword v10, off, s[40:43], 0 offset:44
	v_add_co_u32 v4, vcc_lo, v4, s2
	v_add_co_ci_u32_e32 v5, vcc_lo, s3, v5, vcc_lo
	s_waitcnt vmcnt(0)
	global_load_dwordx4 v[0:3], v[9:10], off offset:384
	s_waitcnt vmcnt(0) lgkmcnt(0)
	v_mul_f64 v[7:8], v[13:14], v[2:3]
	v_mul_f64 v[2:3], v[11:12], v[2:3]
	v_fma_f64 v[7:8], v[11:12], v[0:1], v[7:8]
	v_fma_f64 v[2:3], v[0:1], v[13:14], -v[2:3]
	v_mul_f64 v[0:1], v[7:8], s[4:5]
	v_mul_f64 v[2:3], v[2:3], s[4:5]
	global_store_dwordx4 v[4:5], v[0:3], off
	global_load_dwordx4 v[0:3], v[9:10], off offset:1584
	ds_read_b128 v[7:10], v6 offset:5680
	ds_read_b128 v[11:14], v6 offset:6880
	v_add_co_u32 v4, vcc_lo, v4, s2
	v_add_co_ci_u32_e32 v5, vcc_lo, s3, v5, vcc_lo
	;; [unrolled: 28-line block ×3, first 2 shown]
	s_waitcnt vmcnt(0) lgkmcnt(1)
	v_mul_f64 v[15:16], v[9:10], v[2:3]
	v_mul_f64 v[2:3], v[7:8], v[2:3]
	v_fma_f64 v[7:8], v[7:8], v[0:1], v[15:16]
	v_fma_f64 v[2:3], v[0:1], v[9:10], -v[2:3]
	v_mul_f64 v[0:1], v[7:8], s[4:5]
	v_mul_f64 v[2:3], v[2:3], s[4:5]
	global_store_dwordx4 v[4:5], v[0:3], off
	s_clause 0x1
	buffer_load_dword v0, off, s[40:43], 0 offset:24
	buffer_load_dword v1, off, s[40:43], 0 offset:28
	v_add_co_u32 v4, vcc_lo, v4, s2
	v_add_co_ci_u32_e32 v5, vcc_lo, s3, v5, vcc_lo
	s_waitcnt vmcnt(0)
	global_load_dwordx4 v[0:3], v[0:1], off offset:1088
	s_waitcnt vmcnt(0) lgkmcnt(0)
	v_mul_f64 v[7:8], v[13:14], v[2:3]
	v_mul_f64 v[2:3], v[11:12], v[2:3]
	v_fma_f64 v[7:8], v[11:12], v[0:1], v[7:8]
	v_fma_f64 v[2:3], v[0:1], v[13:14], -v[2:3]
	v_mul_f64 v[0:1], v[7:8], s[4:5]
	v_mul_f64 v[2:3], v[2:3], s[4:5]
	global_store_dwordx4 v[4:5], v[0:3], off
	s_clause 0x1
	buffer_load_dword v17, off, s[40:43], 0 offset:16
	buffer_load_dword v18, off, s[40:43], 0 offset:20
	v_add_co_u32 v4, vcc_lo, v4, s2
	v_add_co_ci_u32_e32 v5, vcc_lo, s3, v5, vcc_lo
	s_waitcnt vmcnt(0)
	global_load_dwordx4 v[0:3], v[17:18], off offset:240
	ds_read_b128 v[7:10], v6 offset:10480
	ds_read_b128 v[11:14], v6 offset:11680
	s_waitcnt vmcnt(0) lgkmcnt(1)
	v_mul_f64 v[15:16], v[9:10], v[2:3]
	v_mul_f64 v[2:3], v[7:8], v[2:3]
	v_fma_f64 v[7:8], v[7:8], v[0:1], v[15:16]
	v_fma_f64 v[2:3], v[0:1], v[9:10], -v[2:3]
	v_mul_f64 v[0:1], v[7:8], s[4:5]
	v_mul_f64 v[2:3], v[2:3], s[4:5]
	global_store_dwordx4 v[4:5], v[0:3], off
	global_load_dwordx4 v[0:3], v[17:18], off offset:1440
	s_waitcnt vmcnt(0) lgkmcnt(0)
	v_mul_f64 v[7:8], v[13:14], v[2:3]
	v_mul_f64 v[2:3], v[11:12], v[2:3]
	v_fma_f64 v[7:8], v[11:12], v[0:1], v[7:8]
	v_fma_f64 v[2:3], v[0:1], v[13:14], -v[2:3]
	v_mul_f64 v[0:1], v[7:8], s[4:5]
	v_mul_f64 v[2:3], v[2:3], s[4:5]
	v_add_co_u32 v8, vcc_lo, v4, s2
	v_add_co_ci_u32_e32 v9, vcc_lo, s3, v5, vcc_lo
	global_store_dwordx4 v[8:9], v[0:3], off
	s_clause 0x1
	buffer_load_dword v0, off, s[40:43], 0 offset:248
	buffer_load_dword v1, off, s[40:43], 0 offset:252
	ds_read_b128 v[4:7], v6 offset:12880
	s_waitcnt vmcnt(0)
	global_load_dwordx4 v[0:3], v[0:1], off offset:592
	s_waitcnt vmcnt(0) lgkmcnt(0)
	v_mul_f64 v[10:11], v[6:7], v[2:3]
	v_mul_f64 v[2:3], v[4:5], v[2:3]
	v_fma_f64 v[4:5], v[4:5], v[0:1], v[10:11]
	v_fma_f64 v[2:3], v[0:1], v[6:7], -v[2:3]
	v_mul_f64 v[0:1], v[4:5], s[4:5]
	v_mul_f64 v[2:3], v[2:3], s[4:5]
	v_add_co_u32 v4, vcc_lo, v8, s2
	v_add_co_ci_u32_e32 v5, vcc_lo, s3, v9, vcc_lo
	global_store_dwordx4 v[4:5], v[0:3], off
.LBB0_15:
	s_endpgm
	.section	.rodata,"a",@progbits
	.p2align	6, 0x0
	.amdhsa_kernel bluestein_single_fwd_len825_dim1_dp_op_CI_CI
		.amdhsa_group_segment_fixed_size 13200
		.amdhsa_private_segment_fixed_size 260
		.amdhsa_kernarg_size 104
		.amdhsa_user_sgpr_count 6
		.amdhsa_user_sgpr_private_segment_buffer 1
		.amdhsa_user_sgpr_dispatch_ptr 0
		.amdhsa_user_sgpr_queue_ptr 0
		.amdhsa_user_sgpr_kernarg_segment_ptr 1
		.amdhsa_user_sgpr_dispatch_id 0
		.amdhsa_user_sgpr_flat_scratch_init 0
		.amdhsa_user_sgpr_private_segment_size 0
		.amdhsa_wavefront_size32 1
		.amdhsa_uses_dynamic_stack 0
		.amdhsa_system_sgpr_private_segment_wavefront_offset 1
		.amdhsa_system_sgpr_workgroup_id_x 1
		.amdhsa_system_sgpr_workgroup_id_y 0
		.amdhsa_system_sgpr_workgroup_id_z 0
		.amdhsa_system_sgpr_workgroup_info 0
		.amdhsa_system_vgpr_workitem_id 0
		.amdhsa_next_free_vgpr 256
		.amdhsa_next_free_sgpr 44
		.amdhsa_reserve_vcc 1
		.amdhsa_reserve_flat_scratch 0
		.amdhsa_float_round_mode_32 0
		.amdhsa_float_round_mode_16_64 0
		.amdhsa_float_denorm_mode_32 3
		.amdhsa_float_denorm_mode_16_64 3
		.amdhsa_dx10_clamp 1
		.amdhsa_ieee_mode 1
		.amdhsa_fp16_overflow 0
		.amdhsa_workgroup_processor_mode 1
		.amdhsa_memory_ordered 1
		.amdhsa_forward_progress 0
		.amdhsa_shared_vgpr_count 0
		.amdhsa_exception_fp_ieee_invalid_op 0
		.amdhsa_exception_fp_denorm_src 0
		.amdhsa_exception_fp_ieee_div_zero 0
		.amdhsa_exception_fp_ieee_overflow 0
		.amdhsa_exception_fp_ieee_underflow 0
		.amdhsa_exception_fp_ieee_inexact 0
		.amdhsa_exception_int_div_zero 0
	.end_amdhsa_kernel
	.text
.Lfunc_end0:
	.size	bluestein_single_fwd_len825_dim1_dp_op_CI_CI, .Lfunc_end0-bluestein_single_fwd_len825_dim1_dp_op_CI_CI
                                        ; -- End function
	.section	.AMDGPU.csdata,"",@progbits
; Kernel info:
; codeLenInByte = 29708
; NumSgprs: 46
; NumVgprs: 256
; ScratchSize: 260
; MemoryBound: 0
; FloatMode: 240
; IeeeMode: 1
; LDSByteSize: 13200 bytes/workgroup (compile time only)
; SGPRBlocks: 5
; VGPRBlocks: 31
; NumSGPRsForWavesPerEU: 46
; NumVGPRsForWavesPerEU: 256
; Occupancy: 4
; WaveLimiterHint : 1
; COMPUTE_PGM_RSRC2:SCRATCH_EN: 1
; COMPUTE_PGM_RSRC2:USER_SGPR: 6
; COMPUTE_PGM_RSRC2:TRAP_HANDLER: 0
; COMPUTE_PGM_RSRC2:TGID_X_EN: 1
; COMPUTE_PGM_RSRC2:TGID_Y_EN: 0
; COMPUTE_PGM_RSRC2:TGID_Z_EN: 0
; COMPUTE_PGM_RSRC2:TIDIG_COMP_CNT: 0
	.text
	.p2alignl 6, 3214868480
	.fill 48, 4, 3214868480
	.type	__hip_cuid_4584e6af02762e94,@object ; @__hip_cuid_4584e6af02762e94
	.section	.bss,"aw",@nobits
	.globl	__hip_cuid_4584e6af02762e94
__hip_cuid_4584e6af02762e94:
	.byte	0                               ; 0x0
	.size	__hip_cuid_4584e6af02762e94, 1

	.ident	"AMD clang version 19.0.0git (https://github.com/RadeonOpenCompute/llvm-project roc-6.4.0 25133 c7fe45cf4b819c5991fe208aaa96edf142730f1d)"
	.section	".note.GNU-stack","",@progbits
	.addrsig
	.addrsig_sym __hip_cuid_4584e6af02762e94
	.amdgpu_metadata
---
amdhsa.kernels:
  - .args:
      - .actual_access:  read_only
        .address_space:  global
        .offset:         0
        .size:           8
        .value_kind:     global_buffer
      - .actual_access:  read_only
        .address_space:  global
        .offset:         8
        .size:           8
        .value_kind:     global_buffer
      - .actual_access:  read_only
        .address_space:  global
        .offset:         16
        .size:           8
        .value_kind:     global_buffer
      - .actual_access:  read_only
        .address_space:  global
        .offset:         24
        .size:           8
        .value_kind:     global_buffer
      - .actual_access:  read_only
        .address_space:  global
        .offset:         32
        .size:           8
        .value_kind:     global_buffer
      - .offset:         40
        .size:           8
        .value_kind:     by_value
      - .address_space:  global
        .offset:         48
        .size:           8
        .value_kind:     global_buffer
      - .address_space:  global
        .offset:         56
        .size:           8
        .value_kind:     global_buffer
      - .address_space:  global
        .offset:         64
        .size:           8
        .value_kind:     global_buffer
      - .address_space:  global
        .offset:         72
        .size:           8
        .value_kind:     global_buffer
      - .offset:         80
        .size:           4
        .value_kind:     by_value
      - .address_space:  global
        .offset:         88
        .size:           8
        .value_kind:     global_buffer
      - .address_space:  global
        .offset:         96
        .size:           8
        .value_kind:     global_buffer
    .group_segment_fixed_size: 13200
    .kernarg_segment_align: 8
    .kernarg_segment_size: 104
    .language:       OpenCL C
    .language_version:
      - 2
      - 0
    .max_flat_workgroup_size: 55
    .name:           bluestein_single_fwd_len825_dim1_dp_op_CI_CI
    .private_segment_fixed_size: 260
    .sgpr_count:     46
    .sgpr_spill_count: 0
    .symbol:         bluestein_single_fwd_len825_dim1_dp_op_CI_CI.kd
    .uniform_work_group_size: 1
    .uses_dynamic_stack: false
    .vgpr_count:     256
    .vgpr_spill_count: 68
    .wavefront_size: 32
    .workgroup_processor_mode: 1
amdhsa.target:   amdgcn-amd-amdhsa--gfx1030
amdhsa.version:
  - 1
  - 2
...

	.end_amdgpu_metadata
